;; amdgpu-corpus repo=ROCm/rocFFT kind=compiled arch=gfx1030 opt=O3
	.text
	.amdgcn_target "amdgcn-amd-amdhsa--gfx1030"
	.amdhsa_code_object_version 6
	.protected	fft_rtc_fwd_len2025_factors_3_3_5_5_3_3_wgs_135_tpt_135_halfLds_sp_op_CI_CI_unitstride_sbrr_dirReg ; -- Begin function fft_rtc_fwd_len2025_factors_3_3_5_5_3_3_wgs_135_tpt_135_halfLds_sp_op_CI_CI_unitstride_sbrr_dirReg
	.globl	fft_rtc_fwd_len2025_factors_3_3_5_5_3_3_wgs_135_tpt_135_halfLds_sp_op_CI_CI_unitstride_sbrr_dirReg
	.p2align	8
	.type	fft_rtc_fwd_len2025_factors_3_3_5_5_3_3_wgs_135_tpt_135_halfLds_sp_op_CI_CI_unitstride_sbrr_dirReg,@function
fft_rtc_fwd_len2025_factors_3_3_5_5_3_3_wgs_135_tpt_135_halfLds_sp_op_CI_CI_unitstride_sbrr_dirReg: ; @fft_rtc_fwd_len2025_factors_3_3_5_5_3_3_wgs_135_tpt_135_halfLds_sp_op_CI_CI_unitstride_sbrr_dirReg
; %bb.0:
	s_clause 0x2
	s_load_dwordx4 s[12:15], s[4:5], 0x0
	s_load_dwordx4 s[8:11], s[4:5], 0x58
	;; [unrolled: 1-line block ×3, first 2 shown]
	v_mul_u32_u24_e32 v2, 0x1e6, v0
	v_mov_b32_e32 v1, 0
	v_mov_b32_e32 v10, 0
	;; [unrolled: 1-line block ×3, first 2 shown]
	v_add_nc_u32_sdwa v3, s6, v2 dst_sel:DWORD dst_unused:UNUSED_PAD src0_sel:DWORD src1_sel:WORD_1
	v_mov_b32_e32 v4, v1
	s_waitcnt lgkmcnt(0)
	v_cmp_lt_u64_e64 s0, s[14:15], 2
	s_and_b32 vcc_lo, exec_lo, s0
	s_cbranch_vccnz .LBB0_8
; %bb.1:
	s_load_dwordx2 s[0:1], s[4:5], 0x10
	v_mov_b32_e32 v10, 0
	v_mov_b32_e32 v11, 0
	s_add_u32 s2, s18, 8
	s_addc_u32 s3, s19, 0
	s_add_u32 s6, s16, 8
	s_addc_u32 s7, s17, 0
	v_mov_b32_e32 v25, v11
	v_mov_b32_e32 v24, v10
	s_mov_b64 s[22:23], 1
	s_waitcnt lgkmcnt(0)
	s_add_u32 s20, s0, 8
	s_addc_u32 s21, s1, 0
.LBB0_2:                                ; =>This Inner Loop Header: Depth=1
	s_load_dwordx2 s[24:25], s[20:21], 0x0
                                        ; implicit-def: $vgpr26_vgpr27
	s_mov_b32 s0, exec_lo
	s_waitcnt lgkmcnt(0)
	v_or_b32_e32 v2, s25, v4
	v_cmpx_ne_u64_e32 0, v[1:2]
	s_xor_b32 s1, exec_lo, s0
	s_cbranch_execz .LBB0_4
; %bb.3:                                ;   in Loop: Header=BB0_2 Depth=1
	v_cvt_f32_u32_e32 v2, s24
	v_cvt_f32_u32_e32 v5, s25
	s_sub_u32 s0, 0, s24
	s_subb_u32 s26, 0, s25
	v_fmac_f32_e32 v2, 0x4f800000, v5
	v_rcp_f32_e32 v2, v2
	v_mul_f32_e32 v2, 0x5f7ffffc, v2
	v_mul_f32_e32 v5, 0x2f800000, v2
	v_trunc_f32_e32 v5, v5
	v_fmac_f32_e32 v2, 0xcf800000, v5
	v_cvt_u32_f32_e32 v5, v5
	v_cvt_u32_f32_e32 v2, v2
	v_mul_lo_u32 v6, s0, v5
	v_mul_hi_u32 v7, s0, v2
	v_mul_lo_u32 v8, s26, v2
	v_add_nc_u32_e32 v6, v7, v6
	v_mul_lo_u32 v7, s0, v2
	v_add_nc_u32_e32 v6, v6, v8
	v_mul_hi_u32 v8, v2, v7
	v_mul_lo_u32 v9, v2, v6
	v_mul_hi_u32 v12, v2, v6
	v_mul_hi_u32 v13, v5, v7
	v_mul_lo_u32 v7, v5, v7
	v_mul_hi_u32 v14, v5, v6
	v_mul_lo_u32 v6, v5, v6
	v_add_co_u32 v8, vcc_lo, v8, v9
	v_add_co_ci_u32_e32 v9, vcc_lo, 0, v12, vcc_lo
	v_add_co_u32 v7, vcc_lo, v8, v7
	v_add_co_ci_u32_e32 v7, vcc_lo, v9, v13, vcc_lo
	v_add_co_ci_u32_e32 v8, vcc_lo, 0, v14, vcc_lo
	v_add_co_u32 v6, vcc_lo, v7, v6
	v_add_co_ci_u32_e32 v7, vcc_lo, 0, v8, vcc_lo
	v_add_co_u32 v2, vcc_lo, v2, v6
	v_add_co_ci_u32_e32 v5, vcc_lo, v5, v7, vcc_lo
	v_mul_hi_u32 v6, s0, v2
	v_mul_lo_u32 v8, s26, v2
	v_mul_lo_u32 v7, s0, v5
	v_add_nc_u32_e32 v6, v6, v7
	v_mul_lo_u32 v7, s0, v2
	v_add_nc_u32_e32 v6, v6, v8
	v_mul_hi_u32 v8, v2, v7
	v_mul_lo_u32 v9, v2, v6
	v_mul_hi_u32 v12, v2, v6
	v_mul_hi_u32 v13, v5, v7
	v_mul_lo_u32 v7, v5, v7
	v_mul_hi_u32 v14, v5, v6
	v_mul_lo_u32 v6, v5, v6
	v_add_co_u32 v8, vcc_lo, v8, v9
	v_add_co_ci_u32_e32 v9, vcc_lo, 0, v12, vcc_lo
	v_add_co_u32 v7, vcc_lo, v8, v7
	v_add_co_ci_u32_e32 v7, vcc_lo, v9, v13, vcc_lo
	v_add_co_ci_u32_e32 v8, vcc_lo, 0, v14, vcc_lo
	v_add_co_u32 v6, vcc_lo, v7, v6
	v_add_co_ci_u32_e32 v7, vcc_lo, 0, v8, vcc_lo
	v_add_co_u32 v2, vcc_lo, v2, v6
	v_add_co_ci_u32_e32 v9, vcc_lo, v5, v7, vcc_lo
	v_mul_hi_u32 v14, v3, v2
	v_mad_u64_u32 v[7:8], null, v4, v2, 0
	v_mad_u64_u32 v[5:6], null, v3, v9, 0
	;; [unrolled: 1-line block ×3, first 2 shown]
	v_add_co_u32 v2, vcc_lo, v14, v5
	v_add_co_ci_u32_e32 v5, vcc_lo, 0, v6, vcc_lo
	v_add_co_u32 v2, vcc_lo, v2, v7
	v_add_co_ci_u32_e32 v2, vcc_lo, v5, v8, vcc_lo
	v_add_co_ci_u32_e32 v5, vcc_lo, 0, v13, vcc_lo
	v_add_co_u32 v2, vcc_lo, v2, v12
	v_add_co_ci_u32_e32 v7, vcc_lo, 0, v5, vcc_lo
	v_mul_lo_u32 v8, s25, v2
	v_mad_u64_u32 v[5:6], null, s24, v2, 0
	v_mul_lo_u32 v9, s24, v7
	v_sub_co_u32 v5, vcc_lo, v3, v5
	v_add3_u32 v6, v6, v9, v8
	v_sub_nc_u32_e32 v8, v4, v6
	v_subrev_co_ci_u32_e64 v8, s0, s25, v8, vcc_lo
	v_add_co_u32 v9, s0, v2, 2
	v_add_co_ci_u32_e64 v12, s0, 0, v7, s0
	v_sub_co_u32 v13, s0, v5, s24
	v_sub_co_ci_u32_e32 v6, vcc_lo, v4, v6, vcc_lo
	v_subrev_co_ci_u32_e64 v8, s0, 0, v8, s0
	v_cmp_le_u32_e32 vcc_lo, s24, v13
	v_cmp_eq_u32_e64 s0, s25, v6
	v_cndmask_b32_e64 v13, 0, -1, vcc_lo
	v_cmp_le_u32_e32 vcc_lo, s25, v8
	v_cndmask_b32_e64 v14, 0, -1, vcc_lo
	v_cmp_le_u32_e32 vcc_lo, s24, v5
	;; [unrolled: 2-line block ×3, first 2 shown]
	v_cndmask_b32_e64 v15, 0, -1, vcc_lo
	v_cmp_eq_u32_e32 vcc_lo, s25, v8
	v_cndmask_b32_e64 v5, v15, v5, s0
	v_cndmask_b32_e32 v8, v14, v13, vcc_lo
	v_add_co_u32 v13, vcc_lo, v2, 1
	v_add_co_ci_u32_e32 v14, vcc_lo, 0, v7, vcc_lo
	v_cmp_ne_u32_e32 vcc_lo, 0, v8
	v_cndmask_b32_e32 v6, v14, v12, vcc_lo
	v_cndmask_b32_e32 v8, v13, v9, vcc_lo
	v_cmp_ne_u32_e32 vcc_lo, 0, v5
	v_cndmask_b32_e32 v27, v7, v6, vcc_lo
	v_cndmask_b32_e32 v26, v2, v8, vcc_lo
.LBB0_4:                                ;   in Loop: Header=BB0_2 Depth=1
	s_andn2_saveexec_b32 s0, s1
	s_cbranch_execz .LBB0_6
; %bb.5:                                ;   in Loop: Header=BB0_2 Depth=1
	v_cvt_f32_u32_e32 v2, s24
	s_sub_i32 s1, 0, s24
	v_mov_b32_e32 v27, v1
	v_rcp_iflag_f32_e32 v2, v2
	v_mul_f32_e32 v2, 0x4f7ffffe, v2
	v_cvt_u32_f32_e32 v2, v2
	v_mul_lo_u32 v5, s1, v2
	v_mul_hi_u32 v5, v2, v5
	v_add_nc_u32_e32 v2, v2, v5
	v_mul_hi_u32 v2, v3, v2
	v_mul_lo_u32 v5, v2, s24
	v_add_nc_u32_e32 v6, 1, v2
	v_sub_nc_u32_e32 v5, v3, v5
	v_subrev_nc_u32_e32 v7, s24, v5
	v_cmp_le_u32_e32 vcc_lo, s24, v5
	v_cndmask_b32_e32 v5, v5, v7, vcc_lo
	v_cndmask_b32_e32 v2, v2, v6, vcc_lo
	v_cmp_le_u32_e32 vcc_lo, s24, v5
	v_add_nc_u32_e32 v6, 1, v2
	v_cndmask_b32_e32 v26, v2, v6, vcc_lo
.LBB0_6:                                ;   in Loop: Header=BB0_2 Depth=1
	s_or_b32 exec_lo, exec_lo, s0
	v_mul_lo_u32 v2, v27, s24
	v_mul_lo_u32 v7, v26, s25
	s_load_dwordx2 s[0:1], s[6:7], 0x0
	v_mad_u64_u32 v[5:6], null, v26, s24, 0
	s_load_dwordx2 s[24:25], s[2:3], 0x0
	s_add_u32 s22, s22, 1
	s_addc_u32 s23, s23, 0
	s_add_u32 s2, s2, 8
	s_addc_u32 s3, s3, 0
	s_add_u32 s6, s6, 8
	v_add3_u32 v2, v6, v7, v2
	v_sub_co_u32 v3, vcc_lo, v3, v5
	s_addc_u32 s7, s7, 0
	s_add_u32 s20, s20, 8
	v_sub_co_ci_u32_e32 v2, vcc_lo, v4, v2, vcc_lo
	s_addc_u32 s21, s21, 0
	s_waitcnt lgkmcnt(0)
	v_mul_lo_u32 v4, s0, v2
	v_mul_lo_u32 v5, s1, v3
	v_mad_u64_u32 v[10:11], null, s0, v3, v[10:11]
	v_mul_lo_u32 v2, s24, v2
	v_mul_lo_u32 v6, s25, v3
	v_mad_u64_u32 v[24:25], null, s24, v3, v[24:25]
	v_cmp_ge_u64_e64 s0, s[22:23], s[14:15]
	v_add3_u32 v11, v5, v11, v4
	v_add3_u32 v25, v6, v25, v2
	s_and_b32 vcc_lo, exec_lo, s0
	s_cbranch_vccnz .LBB0_9
; %bb.7:                                ;   in Loop: Header=BB0_2 Depth=1
	v_mov_b32_e32 v3, v26
	v_mov_b32_e32 v4, v27
	s_branch .LBB0_2
.LBB0_8:
	v_mov_b32_e32 v25, v11
	v_mov_b32_e32 v27, v4
	;; [unrolled: 1-line block ×4, first 2 shown]
.LBB0_9:
	s_load_dwordx2 s[0:1], s[4:5], 0x28
	v_mul_hi_u32 v2, 0x1e573ad, v0
	s_lshl_b64 s[4:5], s[14:15], 3
                                        ; implicit-def: $vgpr44
	s_add_u32 s2, s18, s4
	s_addc_u32 s3, s19, s5
	s_waitcnt lgkmcnt(0)
	v_cmp_gt_u64_e32 vcc_lo, s[0:1], v[26:27]
	v_cmp_le_u64_e64 s0, s[0:1], v[26:27]
	s_and_saveexec_b32 s1, s0
	s_xor_b32 s0, exec_lo, s1
; %bb.10:
	v_mul_u32_u24_e32 v1, 0x87, v2
                                        ; implicit-def: $vgpr2
                                        ; implicit-def: $vgpr10_vgpr11
	v_sub_nc_u32_e32 v44, v0, v1
                                        ; implicit-def: $vgpr0
; %bb.11:
	s_or_saveexec_b32 s1, s0
                                        ; implicit-def: $vgpr12
                                        ; implicit-def: $vgpr14
                                        ; implicit-def: $vgpr5
                                        ; implicit-def: $vgpr16
                                        ; implicit-def: $vgpr18
                                        ; implicit-def: $vgpr7
                                        ; implicit-def: $vgpr20
                                        ; implicit-def: $vgpr22
                                        ; implicit-def: $vgpr9
                                        ; implicit-def: $vgpr29
                                        ; implicit-def: $vgpr31
                                        ; implicit-def: $vgpr3
                                        ; implicit-def: $vgpr33
                                        ; implicit-def: $vgpr35
                                        ; implicit-def: $vgpr1
	s_xor_b32 exec_lo, exec_lo, s1
	s_cbranch_execz .LBB0_13
; %bb.12:
	s_add_u32 s4, s16, s4
	s_addc_u32 s5, s17, s5
	s_load_dwordx2 s[4:5], s[4:5], 0x0
	s_waitcnt lgkmcnt(0)
	v_mul_lo_u32 v1, s5, v26
	v_mul_lo_u32 v5, s4, v27
	v_mad_u64_u32 v[3:4], null, s4, v26, 0
	v_add3_u32 v4, v4, v5, v1
	v_mul_u32_u24_e32 v5, 0x87, v2
	v_lshlrev_b64 v[1:2], 3, v[3:4]
	v_lshlrev_b64 v[3:4], 3, v[10:11]
	v_sub_nc_u32_e32 v44, v0, v5
	v_add_co_u32 v0, s0, s8, v1
	v_add_co_ci_u32_e64 v1, s0, s9, v2, s0
	v_lshlrev_b32_e32 v2, 3, v44
	v_add_co_u32 v0, s0, v0, v3
	v_add_co_ci_u32_e64 v1, s0, v1, v4, s0
	v_add_co_u32 v4, s0, v0, v2
	v_add_co_ci_u32_e64 v5, s0, 0, v1, s0
	s_clause 0x1
	global_load_dwordx2 v[0:1], v[4:5], off
	global_load_dwordx2 v[2:3], v[4:5], off offset:1080
	v_add_co_u32 v10, s0, 0x1000, v4
	v_add_co_ci_u32_e64 v11, s0, 0, v5, s0
	v_add_co_u32 v6, s0, 0x2800, v4
	v_add_co_ci_u32_e64 v7, s0, 0, v5, s0
	;; [unrolled: 2-line block ×7, first 2 shown]
	s_clause 0xc
	global_load_dwordx2 v[32:33], v[6:7], off offset:560
	global_load_dwordx2 v[21:22], v[8:9], off offset:1416
	;; [unrolled: 1-line block ×13, first 2 shown]
.LBB0_13:
	s_or_b32 exec_lo, exec_lo, s1
	s_waitcnt vmcnt(4)
	v_add_f32_e32 v10, v32, v34
	v_add_f32_e32 v37, v33, v35
	;; [unrolled: 1-line block ×3, first 2 shown]
	v_sub_f32_e32 v34, v34, v32
	v_sub_f32_e32 v36, v35, v33
	v_fmac_f32_e32 v0, -0.5, v10
	v_add_f32_e32 v10, v35, v1
	v_fmac_f32_e32 v1, -0.5, v37
	v_add_f32_e32 v35, v30, v2
	v_add_f32_e32 v23, v32, v23
	v_fmamk_f32 v32, v36, 0x3f5db3d7, v0
	v_add_f32_e32 v10, v33, v10
	v_add_f32_e32 v33, v28, v30
	v_fmamk_f32 v38, v34, 0xbf5db3d7, v1
	v_fmac_f32_e32 v1, 0x3f5db3d7, v34
	v_add_f32_e32 v34, v29, v31
	v_add_f32_e32 v35, v28, v35
	v_fmac_f32_e32 v2, -0.5, v33
	v_sub_f32_e32 v33, v31, v29
	v_add_f32_e32 v31, v31, v3
	v_fmac_f32_e32 v3, -0.5, v34
	v_sub_f32_e32 v28, v30, v28
	v_fmac_f32_e32 v0, 0xbf5db3d7, v36
	v_fmamk_f32 v30, v33, 0x3f5db3d7, v2
	v_add_f32_e32 v39, v29, v31
	v_add_f32_e32 v29, v19, v21
	v_fmamk_f32 v42, v28, 0xbf5db3d7, v3
	v_fmac_f32_e32 v3, 0x3f5db3d7, v28
	v_add_f32_e32 v28, v20, v22
	v_add_f32_e32 v31, v21, v8
	v_fmac_f32_e32 v8, -0.5, v29
	v_sub_f32_e32 v29, v22, v20
	v_add_f32_e32 v22, v22, v9
	v_fmac_f32_e32 v9, -0.5, v28
	s_waitcnt vmcnt(2)
	v_add_f32_e32 v28, v15, v17
	v_add_f32_e32 v31, v19, v31
	v_sub_f32_e32 v19, v21, v19
	v_add_f32_e32 v54, v20, v22
	v_add_f32_e32 v20, v17, v6
	v_fmac_f32_e32 v6, -0.5, v28
	v_add_f32_e32 v28, v16, v18
	v_sub_f32_e32 v22, v18, v16
	v_add_f32_e32 v18, v18, v7
	v_fmamk_f32 v55, v19, 0xbf5db3d7, v9
	v_fmac_f32_e32 v9, 0x3f5db3d7, v19
	v_add_f32_e32 v19, v15, v20
	v_fmac_f32_e32 v7, -0.5, v28
	v_sub_f32_e32 v15, v17, v15
	v_add_f32_e32 v16, v16, v18
	s_waitcnt vmcnt(1)
	v_add_f32_e32 v17, v13, v4
	s_waitcnt vmcnt(0)
	v_add_f32_e32 v18, v11, v13
	v_fmac_f32_e32 v2, 0xbf5db3d7, v33
	v_fmamk_f32 v57, v15, 0xbf5db3d7, v7
	v_fmac_f32_e32 v7, 0x3f5db3d7, v15
	v_add_f32_e32 v15, v12, v14
	v_add_f32_e32 v17, v11, v17
	v_fmac_f32_e32 v4, -0.5, v18
	v_sub_f32_e32 v18, v14, v12
	v_sub_f32_e32 v11, v13, v11
	v_mad_u32_u24 v13, v44, 12, 0
	v_add_f32_e32 v14, v14, v5
	v_fmac_f32_e32 v5, -0.5, v15
	v_fmamk_f32 v15, v18, 0x3f5db3d7, v4
	v_fmac_f32_e32 v4, 0xbf5db3d7, v18
	v_add_nc_u32_e32 v18, 0x654, v13
	v_fmamk_f32 v21, v29, 0x3f5db3d7, v8
	v_add_f32_e32 v12, v12, v14
	v_fmamk_f32 v14, v11, 0xbf5db3d7, v5
	v_fmac_f32_e32 v5, 0x3f5db3d7, v11
	v_add_nc_u32_e32 v11, 0xca8, v13
	s_load_dwordx2 s[2:3], s[2:3], 0x0
	ds_write2_b32 v13, v23, v32 offset1:1
	ds_write_b32 v13, v0 offset:8
	ds_write2_b32 v18, v35, v30 offset1:1
	ds_write_b32 v13, v2 offset:1628
	ds_write2_b32 v11, v31, v21 offset1:1
	v_lshlrev_b32_e32 v2, 3, v44
	v_fmac_f32_e32 v8, 0xbf5db3d7, v29
	v_fmamk_f32 v20, v22, 0x3f5db3d7, v6
	v_add_nc_u32_e32 v0, 0x12fc, v13
	v_fmac_f32_e32 v6, 0xbf5db3d7, v22
	v_sub_nc_u32_e32 v48, v13, v2
	ds_write_b32 v13, v8 offset:3248
	v_add_nc_u32_e32 v8, 0x1950, v13
	ds_write2_b32 v0, v19, v20 offset1:1
	ds_write_b32 v13, v6 offset:4868
	v_add_nc_u32_e32 v53, 0x21c, v44
	v_add_nc_u32_e32 v50, 0x1400, v48
	;; [unrolled: 1-line block ×7, first 2 shown]
	ds_write2_b32 v8, v17, v15 offset1:1
	ds_write_b32 v13, v4 offset:6488
	s_waitcnt lgkmcnt(0)
	s_barrier
	buffer_gl0_inv
	ds_read2_b32 v[22:23], v48 offset1:135
	ds_read2_b32 v[20:21], v49 offset0:28 offset1:163
	ds_read2_b32 v[30:31], v50 offset0:70 offset1:205
	;; [unrolled: 1-line block ×4, first 2 shown]
	v_mov_b32_e32 v15, 0xaaab
	ds_read2_b32 v[34:35], v47 offset0:84 offset1:219
	ds_read2_b32 v[36:37], v51 offset0:56 offset1:191
	ds_read_b32 v40, v48 offset:7560
	s_waitcnt lgkmcnt(0)
	s_barrier
	buffer_gl0_inv
	ds_write2_b32 v13, v10, v38 offset1:1
	ds_write_b32 v13, v1 offset:8
	ds_write2_b32 v18, v39, v42 offset1:1
	ds_write_b32 v13, v3 offset:1628
	ds_write2_b32 v11, v54, v55 offset1:1
	v_add_nc_u32_e32 v55, 0x10e, v44
	v_add_nc_u32_e32 v52, 0x195, v44
	v_mul_u32_u24_sdwa v2, v53, v15 dst_sel:DWORD dst_unused:UNUSED_PAD src0_sel:WORD_0 src1_sel:DWORD
	ds_write_b32 v13, v9 offset:3248
	ds_write2_b32 v0, v16, v57 offset1:1
	ds_write_b32 v13, v7 offset:4868
	ds_write2_b32 v8, v12, v14 offset1:1
	v_mul_u32_u24_sdwa v8, v55, v15 dst_sel:DWORD dst_unused:UNUSED_PAD src0_sel:WORD_0 src1_sel:DWORD
	v_mul_u32_u24_sdwa v4, v52, v15 dst_sel:DWORD dst_unused:UNUSED_PAD src0_sel:WORD_0 src1_sel:DWORD
	v_lshrrev_b32_e32 v41, 17, v2
	v_add_nc_u32_e32 v54, 0x87, v44
	v_and_b32_e32 v42, 0xff, v44
	v_lshrrev_b32_e32 v63, 17, v8
	v_lshrrev_b32_e32 v43, 17, v4
	v_mul_lo_u16 v1, v41, 3
	v_mul_u32_u24_sdwa v8, v54, v15 dst_sel:DWORD dst_unused:UNUSED_PAD src0_sel:WORD_0 src1_sel:DWORD
	v_mov_b32_e32 v56, 4
	v_mul_lo_u16 v9, v63, 3
	v_mul_lo_u16 v2, v43, 3
	v_sub_nc_u16 v59, v53, v1
	v_lshrrev_b32_e32 v64, 17, v8
	v_mul_lo_u16 v8, 0xab, v42
	v_sub_nc_u16 v66, v55, v9
	v_sub_nc_u16 v65, v52, v2
	v_lshlrev_b32_sdwa v0, v56, v59 dst_sel:DWORD dst_unused:UNUSED_PAD src0_sel:DWORD src1_sel:WORD_0
	ds_write_b32 v13, v5 offset:6488
	v_lshrrev_b16 v68, 9, v8
	v_lshlrev_b32_sdwa v8, v56, v66 dst_sel:DWORD dst_unused:UNUSED_PAD src0_sel:DWORD src1_sel:WORD_0
	s_waitcnt lgkmcnt(0)
	s_barrier
	buffer_gl0_inv
	s_clause 0x1
	global_load_dwordx4 v[4:7], v0, s[12:13]
	global_load_dwordx4 v[12:15], v8, s[12:13]
	v_lshlrev_b32_sdwa v0, v56, v65 dst_sel:DWORD dst_unused:UNUSED_PAD src0_sel:DWORD src1_sel:WORD_0
	v_mul_lo_u16 v9, v64, 3
	v_mov_b32_e32 v57, 0xe38f
	v_mov_b32_e32 v75, 36
	v_mul_u32_u24_e32 v43, 36, v43
	global_load_dwordx4 v[0:3], v0, s[12:13]
	v_sub_nc_u16 v67, v54, v9
	v_mul_lo_u16 v9, v68, 3
	v_mul_u32_u24_sdwa v61, v54, v57 dst_sel:DWORD dst_unused:UNUSED_PAD src0_sel:WORD_0 src1_sel:DWORD
	v_mul_u32_u24_sdwa v62, v55, v57 dst_sel:DWORD dst_unused:UNUSED_PAD src0_sel:WORD_0 src1_sel:DWORD
	v_mov_b32_e32 v57, 2
	v_lshlrev_b32_sdwa v8, v56, v67 dst_sel:DWORD dst_unused:UNUSED_PAD src0_sel:DWORD src1_sel:WORD_0
	v_sub_nc_u16 v69, v44, v9
	v_mul_u32_u24_e32 v41, 36, v41
	v_mul_lo_u16 v60, v42, 57
	v_lshlrev_b32_sdwa v65, v57, v65 dst_sel:DWORD dst_unused:UNUSED_PAD src0_sel:DWORD src1_sel:WORD_0
	global_load_dwordx4 v[8:11], v8, s[12:13]
	v_lshlrev_b32_sdwa v16, v56, v69 dst_sel:DWORD dst_unused:UNUSED_PAD src0_sel:DWORD src1_sel:BYTE_0
	v_lshlrev_b32_sdwa v59, v57, v59 dst_sel:DWORD dst_unused:UNUSED_PAD src0_sel:DWORD src1_sel:WORD_0
	v_lshlrev_b32_sdwa v69, v57, v69 dst_sel:DWORD dst_unused:UNUSED_PAD src0_sel:DWORD src1_sel:BYTE_0
	v_add3_u32 v43, 0, v43, v65
	v_lshrrev_b16 v60, 9, v60
	global_load_dwordx4 v[16:19], v16, s[12:13]
	ds_read_b32 v70, v48 offset:7560
	ds_read2_b32 v[38:39], v51 offset0:56 offset1:191
	ds_read2_b32 v[71:72], v47 offset0:84 offset1:219
	;; [unrolled: 1-line block ×3, first 2 shown]
	v_add3_u32 v65, 0, v41, v59
	v_lshrrev_b32_e32 v61, 19, v61
	v_lshlrev_b32_sdwa v66, v57, v66 dst_sel:DWORD dst_unused:UNUSED_PAD src0_sel:DWORD src1_sel:WORD_0
	v_lshlrev_b32_sdwa v67, v57, v67 dst_sel:DWORD dst_unused:UNUSED_PAD src0_sel:DWORD src1_sel:WORD_0
	v_mov_b32_e32 v58, 5
	v_lshrrev_b32_e32 v62, 19, v62
	v_mul_lo_u16 v42, 0x6d, v42
	s_waitcnt vmcnt(4) lgkmcnt(3)
	v_mul_f32_e32 v76, v70, v7
	v_mul_f32_e32 v78, v37, v5
	;; [unrolled: 1-line block ×3, first 2 shown]
	s_waitcnt lgkmcnt(2)
	v_mul_f32_e32 v77, v39, v5
	s_waitcnt vmcnt(3) lgkmcnt(0)
	v_mul_f32_e32 v41, v74, v13
	v_fma_f32 v40, v40, v6, -v76
	v_fmac_f32_e32 v78, v39, v4
	s_waitcnt vmcnt(2)
	v_mul_f32_e32 v7, v38, v1
	v_fmac_f32_e32 v79, v70, v6
	v_mul_f32_e32 v39, v36, v1
	v_fma_f32 v37, v37, v4, -v77
	ds_read2_b32 v[4:5], v50 offset0:70 offset1:205
	v_fma_f32 v36, v36, v0, -v7
	ds_read2_b32 v[6:7], v49 offset0:28 offset1:163
	v_mul_f32_e32 v70, v72, v3
	v_mul_f32_e32 v76, v35, v3
	v_fmac_f32_e32 v39, v38, v0
	ds_read2_b32 v[0:1], v48 offset1:135
	v_mul_u32_u24_sdwa v38, v68, v75 dst_sel:DWORD dst_unused:UNUSED_PAD src0_sel:WORD_0 src1_sel:DWORD
	v_fma_f32 v35, v35, v2, -v70
	v_fmac_f32_e32 v76, v72, v2
	ds_read2_b32 v[2:3], v46 offset0:14 offset1:149
	v_mul_f32_e32 v13, v33, v13
	v_add3_u32 v69, 0, v38, v69
	v_mul_f32_e32 v38, v71, v15
	v_mul_f32_e32 v15, v34, v15
	v_fma_f32 v33, v33, v12, -v41
	v_fmac_f32_e32 v13, v74, v12
	v_mul_u32_u24_e32 v68, 36, v64
	v_fma_f32 v34, v34, v14, -v38
	s_waitcnt vmcnt(1)
	v_mul_f32_e32 v38, v73, v9
	v_mul_f32_e32 v9, v32, v9
	v_fmac_f32_e32 v15, v71, v14
	s_waitcnt vmcnt(0) lgkmcnt(2)
	v_mul_f32_e32 v41, v7, v17
	v_mul_f32_e32 v17, v21, v17
	v_mul_f32_e32 v14, v5, v11
	v_mul_f32_e32 v12, v4, v19
	v_mul_f32_e32 v19, v30, v19
	v_mul_f32_e32 v11, v31, v11
	v_fmac_f32_e32 v17, v7, v16
	v_fma_f32 v32, v32, v8, -v38
	v_fmac_f32_e32 v9, v73, v8
	v_fma_f32 v8, v30, v18, -v12
	v_fma_f32 v12, v21, v16, -v41
	v_fmac_f32_e32 v19, v4, v18
	v_fma_f32 v4, v31, v10, -v14
	v_fmac_f32_e32 v11, v5, v10
	s_waitcnt lgkmcnt(1)
	v_add_f32_e32 v14, v0, v17
	v_mul_lo_u16 v64, v60, 9
	v_mul_u32_u24_e32 v72, 36, v63
	v_add_f32_e32 v5, v12, v8
	v_add_f32_e32 v16, v17, v19
	;; [unrolled: 1-line block ×3, first 2 shown]
	v_sub_f32_e32 v21, v9, v11
	v_add_f32_e32 v30, v1, v9
	v_add_f32_e32 v9, v9, v11
	v_add_f32_e32 v7, v22, v12
	v_sub_f32_e32 v10, v17, v19
	v_add_f32_e32 v38, v33, v34
	v_sub_f32_e32 v41, v13, v15
	s_waitcnt lgkmcnt(0)
	v_add_f32_e32 v59, v2, v13
	v_add_f32_e32 v13, v13, v15
	;; [unrolled: 1-line block ×5, first 2 shown]
	v_mul_lo_u16 v70, v61, 9
	v_sub_nc_u16 v63, v44, v64
	v_add3_u32 v66, 0, v72, v66
	v_sub_f32_e32 v12, v12, v8
	v_add_f32_e32 v17, v23, v32
	v_add_f32_e32 v72, v3, v39
	v_sub_f32_e32 v73, v39, v76
	v_add_f32_e32 v39, v39, v76
	v_fmac_f32_e32 v23, -0.5, v18
	v_add_f32_e32 v18, v78, v79
	v_fma_f32 v5, -0.5, v5, v22
	v_fma_f32 v0, -0.5, v16, v0
	v_sub_f32_e32 v31, v32, v4
	v_fmac_f32_e32 v1, -0.5, v9
	v_add3_u32 v67, 0, v68, v67
	v_add_f32_e32 v32, v28, v33
	v_sub_f32_e32 v33, v33, v34
	v_add_f32_e32 v68, v29, v36
	v_add_f32_e32 v7, v7, v8
	;; [unrolled: 1-line block ×3, first 2 shown]
	v_sub_f32_e32 v74, v78, v79
	v_fmac_f32_e32 v29, -0.5, v71
	v_fmac_f32_e32 v20, -0.5, v19
	v_fma_f32 v16, -0.5, v38, v28
	v_fma_f32 v2, -0.5, v13, v2
	v_sub_nc_u16 v64, v54, v70
	v_lshlrev_b32_sdwa v70, v58, v63 dst_sel:DWORD dst_unused:UNUSED_PAD src0_sel:DWORD src1_sel:BYTE_0
	v_sub_f32_e32 v36, v36, v35
	v_add_f32_e32 v4, v17, v4
	v_add_f32_e32 v17, v6, v78
	v_sub_f32_e32 v37, v37, v40
	v_fmac_f32_e32 v3, -0.5, v39
	v_fmac_f32_e32 v6, -0.5, v18
	v_fmamk_f32 v13, v10, 0x3f5db3d7, v5
	v_fmac_f32_e32 v5, 0xbf5db3d7, v10
	v_fmamk_f32 v10, v12, 0xbf5db3d7, v0
	v_fmac_f32_e32 v0, 0x3f5db3d7, v12
	v_add_f32_e32 v11, v30, v11
	v_fmamk_f32 v12, v21, 0x3f5db3d7, v23
	v_fmamk_f32 v18, v31, 0xbf5db3d7, v1
	v_fmac_f32_e32 v23, 0xbf5db3d7, v21
	v_fmac_f32_e32 v1, 0x3f5db3d7, v31
	v_add_f32_e32 v9, v32, v34
	v_add_f32_e32 v15, v59, v15
	v_fmamk_f32 v19, v41, 0x3f5db3d7, v16
	v_fmamk_f32 v21, v33, 0xbf5db3d7, v2
	;; [unrolled: 1-line block ×3, first 2 shown]
	v_fmac_f32_e32 v29, 0xbf5db3d7, v73
	v_fmamk_f32 v30, v74, 0x3f5db3d7, v20
	s_barrier
	buffer_gl0_inv
	v_add_f32_e32 v22, v68, v35
	v_add_f32_e32 v68, v72, v76
	;; [unrolled: 1-line block ×4, first 2 shown]
	v_fmac_f32_e32 v16, 0xbf5db3d7, v41
	v_fmac_f32_e32 v2, 0x3f5db3d7, v33
	v_fmamk_f32 v71, v36, 0xbf5db3d7, v3
	v_fmac_f32_e32 v3, 0x3f5db3d7, v36
	v_fmac_f32_e32 v20, 0xbf5db3d7, v74
	v_fmamk_f32 v72, v37, 0xbf5db3d7, v6
	v_fmac_f32_e32 v6, 0x3f5db3d7, v37
	ds_write2_b32 v69, v7, v13 offset1:3
	ds_write_b32 v69, v5 offset:24
	ds_write2_b32 v67, v4, v12 offset1:3
	ds_write_b32 v67, v23 offset:24
	;; [unrolled: 2-line block ×5, first 2 shown]
	s_waitcnt lgkmcnt(0)
	s_barrier
	buffer_gl0_inv
	ds_read2_b32 v[30:31], v48 offset1:135
	ds_read2_b32 v[28:29], v46 offset0:14 offset1:149
	ds_read2_b32 v[40:41], v45 offset0:42 offset1:177
	;; [unrolled: 1-line block ×6, first 2 shown]
	ds_read_b32 v59, v48 offset:7560
	s_waitcnt lgkmcnt(0)
	s_barrier
	buffer_gl0_inv
	ds_write2_b32 v69, v14, v10 offset1:3
	ds_write_b32 v69, v0 offset:24
	ds_write2_b32 v67, v11, v18 offset1:3
	ds_write_b32 v67, v1 offset:24
	;; [unrolled: 2-line block ×5, first 2 shown]
	s_waitcnt lgkmcnt(0)
	s_barrier
	buffer_gl0_inv
	global_load_dwordx4 v[12:15], v70, s[12:13] offset:48
	v_mul_lo_u16 v0, v62, 9
	v_lshlrev_b32_sdwa v75, v58, v64 dst_sel:DWORD dst_unused:UNUSED_PAD src0_sel:DWORD src1_sel:WORD_0
	v_lshrrev_b16 v66, 8, v42
	v_mul_u32_u24_e32 v73, 0xb4, v61
	v_mul_u32_u24_e32 v62, 0xb4, v62
	v_sub_nc_u16 v65, v55, v0
	global_load_dwordx4 v[4:7], v75, s[12:13] offset:48
	v_sub_nc_u16 v71, v44, v66
	v_lshlrev_b32_sdwa v63, v57, v63 dst_sel:DWORD dst_unused:UNUSED_PAD src0_sel:DWORD src1_sel:BYTE_0
	v_lshlrev_b32_sdwa v64, v57, v64 dst_sel:DWORD dst_unused:UNUSED_PAD src0_sel:DWORD src1_sel:WORD_0
	v_lshlrev_b32_sdwa v20, v58, v65 dst_sel:DWORD dst_unused:UNUSED_PAD src0_sel:DWORD src1_sel:WORD_0
	s_clause 0x3
	global_load_dwordx4 v[8:11], v20, s[12:13] offset:48
	global_load_dwordx4 v[0:3], v70, s[12:13] offset:64
	;; [unrolled: 1-line block ×4, first 2 shown]
	ds_read2_b32 v[42:43], v46 offset0:14 offset1:149
	ds_read2_b32 v[67:68], v45 offset0:42 offset1:177
	v_mov_b32_e32 v70, 0xb4
	v_lshlrev_b32_sdwa v65, v57, v65 dst_sel:DWORD dst_unused:UNUSED_PAD src0_sel:DWORD src1_sel:WORD_0
	v_add3_u32 v73, 0, v73, v64
	v_mov_b32_e32 v69, 0x2d83
	v_mul_u32_u24_sdwa v70, v60, v70 dst_sel:DWORD dst_unused:UNUSED_PAD src0_sel:WORD_0 src1_sel:DWORD
	v_lshrrev_b16 v60, 1, v71
	v_add3_u32 v74, 0, v62, v65
	v_mul_u32_u24_sdwa v72, v54, v69 dst_sel:DWORD dst_unused:UNUSED_PAD src0_sel:WORD_0 src1_sel:DWORD
	v_mul_u32_u24_sdwa v69, v55, v69 dst_sel:DWORD dst_unused:UNUSED_PAD src0_sel:WORD_0 src1_sel:DWORD
	v_add3_u32 v70, 0, v70, v63
	v_and_b32_e32 v71, 0x7f, v60
	ds_read2_b32 v[60:61], v49 offset0:28 offset1:163
	ds_read2_b32 v[62:63], v51 offset0:56 offset1:191
	ds_read2_b32 v[64:65], v47 offset0:84 offset1:219
	v_add_nc_u16 v66, v71, v66
	s_waitcnt vmcnt(5) lgkmcnt(4)
	v_mul_f32_e32 v71, v43, v13
	v_mul_f32_e32 v75, v29, v13
	s_waitcnt lgkmcnt(3)
	v_mul_f32_e32 v13, v67, v15
	v_mul_f32_e32 v15, v40, v15
	v_fma_f32 v29, v29, v12, -v71
	v_fmac_f32_e32 v75, v43, v12
	v_fma_f32 v40, v40, v14, -v13
	ds_read2_b32 v[12:13], v50 offset0:70 offset1:205
	v_fmac_f32_e32 v15, v67, v14
	ds_read_b32 v14, v48 offset:7560
	s_waitcnt vmcnt(4)
	v_mul_f32_e32 v76, v68, v7
	v_mul_f32_e32 v7, v41, v7
	s_waitcnt lgkmcnt(4)
	v_mul_f32_e32 v43, v60, v5
	v_mul_f32_e32 v67, v38, v5
	v_fma_f32 v41, v41, v6, -v76
	v_fmac_f32_e32 v7, v68, v6
	s_waitcnt vmcnt(3)
	v_mul_f32_e32 v68, v61, v9
	v_fma_f32 v43, v38, v4, -v43
	v_fmac_f32_e32 v67, v60, v4
	v_mul_f32_e32 v4, v39, v9
	s_waitcnt lgkmcnt(3)
	v_mul_f32_e32 v9, v62, v11
	v_mul_f32_e32 v11, v36, v11
	ds_read2_b32 v[5:6], v48 offset1:135
	s_waitcnt vmcnt(2)
	v_mul_f32_e32 v38, v63, v1
	v_fma_f32 v60, v39, v8, -v68
	v_mul_f32_e32 v1, v37, v1
	s_waitcnt lgkmcnt(3)
	v_mul_f32_e32 v39, v64, v3
	v_fmac_f32_e32 v4, v61, v8
	v_mul_f32_e32 v3, v34, v3
	s_waitcnt vmcnt(1)
	v_mul_f32_e32 v8, v65, v19
	v_fma_f32 v9, v36, v10, -v9
	v_fmac_f32_e32 v11, v62, v10
	v_mul_f32_e32 v10, v35, v19
	s_waitcnt lgkmcnt(2)
	v_mul_f32_e32 v19, v12, v17
	v_mul_f32_e32 v17, v32, v17
	s_waitcnt vmcnt(0)
	v_mul_f32_e32 v36, v13, v21
	v_fma_f32 v37, v37, v0, -v38
	v_mul_f32_e32 v21, v33, v21
	s_waitcnt lgkmcnt(1)
	v_mul_f32_e32 v38, v14, v23
	v_fmac_f32_e32 v1, v63, v0
	v_mul_f32_e32 v0, v59, v23
	v_fma_f32 v23, v34, v2, -v39
	v_fmac_f32_e32 v3, v64, v2
	v_fma_f32 v2, v35, v18, -v8
	v_fmac_f32_e32 v10, v65, v18
	;; [unrolled: 2-line block ×5, first 2 shown]
	v_sub_f32_e32 v14, v29, v40
	v_sub_f32_e32 v16, v23, v37
	;; [unrolled: 1-line block ×14, first 2 shown]
	v_add_f32_e32 v35, v41, v8
	v_add_f32_e32 v39, v43, v2
	;; [unrolled: 1-line block ×4, first 2 shown]
	v_sub_f32_e32 v71, v7, v67
	v_sub_f32_e32 v76, v17, v10
	;; [unrolled: 1-line block ×3, first 2 shown]
	v_add_f32_e32 v14, v14, v16
	v_sub_f32_e32 v16, v13, v12
	v_add_f32_e32 v78, v18, v19
	v_add_f32_e32 v18, v9, v12
	;; [unrolled: 1-line block ×5, first 2 shown]
	v_sub_f32_e32 v36, v9, v60
	v_sub_f32_e32 v38, v12, v13
	v_add_f32_e32 v59, v59, v61
	v_add_f32_e32 v61, v62, v63
	;; [unrolled: 1-line block ×4, first 2 shown]
	s_waitcnt lgkmcnt(0)
	v_add_f32_e32 v68, v6, v67
	v_fma_f32 v35, -0.5, v35, v31
	v_fmac_f32_e32 v31, -0.5, v39
	v_sub_f32_e32 v39, v4, v11
	v_sub_f32_e32 v62, v0, v21
	v_fma_f32 v64, -0.5, v64, v6
	v_fmac_f32_e32 v6, -0.5, v65
	v_add_f32_e32 v65, v71, v76
	v_add_f32_e32 v71, v4, v0
	;; [unrolled: 1-line block ×3, first 2 shown]
	v_fma_f32 v77, -0.5, v18, v28
	v_sub_f32_e32 v18, v11, v4
	v_add_f32_e32 v36, v36, v38
	v_sub_f32_e32 v38, v21, v0
	v_fma_f32 v79, -0.5, v63, v42
	v_add_f32_e32 v63, v5, v75
	v_add_f32_e32 v19, v60, v13
	v_add_f32_e32 v32, v28, v60
	v_add_f32_e32 v76, v42, v4
	v_add_f32_e32 v62, v39, v62
	v_add_f32_e32 v39, v30, v29
	v_fmac_f32_e32 v42, -0.5, v71
	v_add_f32_e32 v71, v18, v38
	v_add_f32_e32 v18, v63, v15
	v_fmac_f32_e32 v28, -0.5, v19
	v_lshrrev_b32_e32 v19, 19, v72
	v_add_f32_e32 v39, v39, v40
	v_add_f32_e32 v72, v40, v37
	v_sub_f32_e32 v63, v40, v37
	v_sub_f32_e32 v40, v15, v1
	v_add_f32_e32 v15, v15, v1
	v_add_f32_e32 v1, v18, v1
	v_lshrrev_b16 v18, 5, v66
	v_add_f32_e32 v66, v68, v7
	v_add_f32_e32 v32, v32, v9
	;; [unrolled: 1-line block ×4, first 2 shown]
	v_lshrrev_b32_e32 v39, 19, v69
	v_sub_f32_e32 v7, v7, v17
	v_sub_f32_e32 v9, v9, v12
	v_add_f32_e32 v17, v66, v17
	v_add_f32_e32 v66, v29, v23
	;; [unrolled: 1-line block ×3, first 2 shown]
	v_sub_f32_e32 v32, v75, v3
	v_fma_f32 v69, -0.5, v72, v30
	v_add_f32_e32 v72, v75, v3
	v_sub_f32_e32 v41, v41, v8
	v_add_f32_e32 v8, v34, v8
	v_mul_lo_u16 v34, v18, 45
	v_fma_f32 v30, -0.5, v66, v30
	v_fmamk_f32 v66, v32, 0x3f737871, v69
	v_fmac_f32_e32 v69, 0xbf737871, v32
	v_fma_f32 v15, -0.5, v15, v5
	v_fma_f32 v5, -0.5, v72, v5
	v_sub_f32_e32 v29, v29, v23
	v_add_f32_e32 v23, v37, v23
	v_fmamk_f32 v37, v40, 0xbf737871, v30
	v_fmac_f32_e32 v30, 0x3f737871, v40
	v_fmac_f32_e32 v66, 0x3f167918, v40
	;; [unrolled: 1-line block ×3, first 2 shown]
	v_sub_nc_u16 v40, v44, v34
	v_add_f32_e32 v1, v1, v3
	v_fmamk_f32 v3, v63, 0x3f737871, v5
	v_fmac_f32_e32 v5, 0xbf737871, v63
	v_sub_f32_e32 v34, v67, v10
	v_fmac_f32_e32 v37, 0x3f167918, v32
	v_fmac_f32_e32 v30, 0xbf167918, v32
	v_fmamk_f32 v72, v29, 0xbf737871, v15
	v_fmac_f32_e32 v15, 0x3f737871, v29
	v_sub_f32_e32 v32, v43, v2
	v_fmac_f32_e32 v3, 0xbf167918, v29
	v_fmac_f32_e32 v5, 0x3f167918, v29
	v_fmamk_f32 v29, v34, 0x3f737871, v35
	v_fmac_f32_e32 v35, 0xbf737871, v34
	v_add_f32_e32 v68, v76, v11
	v_sub_f32_e32 v11, v11, v21
	v_add_f32_e32 v2, v8, v2
	v_fmamk_f32 v8, v7, 0xbf737871, v31
	v_fmac_f32_e32 v31, 0x3f737871, v7
	v_sub_f32_e32 v43, v60, v13
	v_sub_f32_e32 v4, v4, v0
	v_fmac_f32_e32 v29, 0x3f167918, v7
	v_fmac_f32_e32 v35, 0xbf167918, v7
	v_fmamk_f32 v7, v32, 0xbf737871, v64
	v_fmac_f32_e32 v64, 0x3f737871, v32
	v_fmac_f32_e32 v8, 0x3f167918, v34
	;; [unrolled: 1-line block ×3, first 2 shown]
	v_fmamk_f32 v60, v41, 0x3f737871, v6
	v_fmac_f32_e32 v6, 0xbf737871, v41
	v_fmamk_f32 v34, v11, 0xbf737871, v28
	v_mul_lo_u16 v38, v19, 45
	v_fmac_f32_e32 v72, 0xbf167918, v63
	v_add_f32_e32 v10, v17, v10
	v_fmamk_f32 v17, v4, 0x3f737871, v77
	v_fmac_f32_e32 v77, 0xbf737871, v4
	v_fmac_f32_e32 v7, 0xbf167918, v41
	v_fmac_f32_e32 v64, 0x3f167918, v41
	v_fmac_f32_e32 v28, 0x3f737871, v11
	v_fmamk_f32 v41, v43, 0xbf737871, v79
	v_fmac_f32_e32 v79, 0x3f737871, v43
	v_add_f32_e32 v12, v12, v13
	v_fmamk_f32 v13, v9, 0x3f737871, v42
	v_fmac_f32_e32 v42, 0xbf737871, v9
	v_fmac_f32_e32 v15, 0x3f167918, v63
	;; [unrolled: 1-line block ×5, first 2 shown]
	v_sub_nc_u16 v38, v54, v38
	v_add_f32_e32 v21, v68, v21
	v_lshlrev_b32_sdwa v76, v58, v40 dst_sel:DWORD dst_unused:UNUSED_PAD src0_sel:DWORD src1_sel:BYTE_0
	v_fmac_f32_e32 v17, 0x3f167918, v11
	v_fmac_f32_e32 v77, 0xbf167918, v11
	;; [unrolled: 1-line block ×17, first 2 shown]
	v_mul_lo_u16 v4, v39, 45
	v_fmac_f32_e32 v35, 0x3e9e377a, v33
	v_fmac_f32_e32 v8, 0x3e9e377a, v59
	;; [unrolled: 1-line block ×6, first 2 shown]
	v_lshlrev_b32_sdwa v75, v58, v38 dst_sel:DWORD dst_unused:UNUSED_PAD src0_sel:DWORD src1_sel:WORD_0
	s_barrier
	buffer_gl0_inv
	v_add_f32_e32 v0, v21, v0
	v_fmac_f32_e32 v64, 0x3e9e377a, v61
	v_fmac_f32_e32 v17, 0x3e9e377a, v16
	;; [unrolled: 1-line block ×8, first 2 shown]
	ds_write2_b32 v70, v23, v66 offset1:9
	ds_write2_b32 v70, v37, v30 offset0:18 offset1:27
	ds_write_b32 v70, v69 offset:144
	ds_write2_b32 v73, v2, v29 offset1:9
	ds_write2_b32 v73, v8, v31 offset0:18 offset1:27
	ds_write_b32 v73, v35 offset:144
	;; [unrolled: 3-line block ×3, first 2 shown]
	s_waitcnt lgkmcnt(0)
	s_barrier
	buffer_gl0_inv
	ds_read2_b32 v[22:23], v48 offset1:135
	ds_read2_b32 v[20:21], v46 offset0:14 offset1:149
	ds_read2_b32 v[68:69], v45 offset0:42 offset1:177
	;; [unrolled: 1-line block ×6, first 2 shown]
	ds_read_b32 v63, v48 offset:7560
	s_waitcnt lgkmcnt(0)
	s_barrier
	buffer_gl0_inv
	ds_write2_b32 v70, v1, v72 offset1:9
	ds_write2_b32 v70, v3, v5 offset0:18 offset1:27
	ds_write_b32 v70, v15 offset:144
	ds_write2_b32 v73, v10, v7 offset1:9
	ds_write2_b32 v73, v60, v6 offset0:18 offset1:27
	ds_write_b32 v73, v64 offset:144
	;; [unrolled: 3-line block ×3, first 2 shown]
	s_waitcnt lgkmcnt(0)
	s_barrier
	buffer_gl0_inv
	s_clause 0x1
	global_load_dwordx4 v[59:62], v76, s[12:13] offset:336
	global_load_dwordx4 v[0:3], v75, s[12:13] offset:336
	v_sub_nc_u16 v41, v55, v4
	v_mov_b32_e32 v17, 0
	v_mul_u32_u24_e32 v74, 0x384, v19
	v_lshlrev_b32_sdwa v38, v57, v38 dst_sel:DWORD dst_unused:UNUSED_PAD src0_sel:DWORD src1_sel:WORD_0
	v_lshlrev_b32_sdwa v40, v57, v40 dst_sel:DWORD dst_unused:UNUSED_PAD src0_sel:DWORD src1_sel:BYTE_0
	v_lshlrev_b32_sdwa v16, v58, v41 dst_sel:DWORD dst_unused:UNUSED_PAD src0_sel:DWORD src1_sel:WORD_0
	s_clause 0x3
	global_load_dwordx4 v[4:7], v16, s[12:13] offset:336
	global_load_dwordx4 v[8:11], v76, s[12:13] offset:352
	;; [unrolled: 1-line block ×4, first 2 shown]
	v_lshlrev_b32_e32 v16, 1, v44
	v_mov_b32_e32 v58, 0x384
	ds_read2_b32 v[28:29], v46 offset0:14 offset1:149
	ds_read2_b32 v[42:43], v45 offset0:42 offset1:177
	;; [unrolled: 1-line block ×3, first 2 shown]
	v_lshlrev_b64 v[70:71], 3, v[16:17]
	v_mul_u32_u24_e32 v75, 0x384, v39
	v_lshlrev_b32_sdwa v41, v57, v41 dst_sel:DWORD dst_unused:UNUSED_PAD src0_sel:DWORD src1_sel:WORD_0
	v_mul_u32_u24_sdwa v58, v18, v58 dst_sel:DWORD dst_unused:UNUSED_PAD src0_sel:WORD_0 src1_sel:DWORD
	v_add3_u32 v39, 0, v74, v38
	v_add_nc_u32_e32 v16, 0x5a, v16
	v_add_co_u32 v18, s0, s12, v70
	v_add_co_ci_u32_e64 v19, s0, s13, v71, s0
	v_add3_u32 v38, 0, v75, v41
	ds_read2_b32 v[70:71], v51 offset0:56 offset1:191
	ds_read2_b32 v[74:75], v47 offset0:84 offset1:219
	;; [unrolled: 1-line block ×3, first 2 shown]
	ds_read_b32 v79, v48 offset:7560
	v_add3_u32 v40, 0, v58, v40
	v_cmp_gt_u32_e64 s0, 0x5a, v44
	s_waitcnt vmcnt(5)
	v_mul_f32_e32 v41, v21, v60
	v_mul_f32_e32 v78, v68, v62
	s_waitcnt lgkmcnt(6)
	v_mul_f32_e32 v58, v29, v60
	s_waitcnt lgkmcnt(5)
	v_mul_f32_e32 v60, v42, v62
	s_waitcnt vmcnt(4)
	v_mul_f32_e32 v62, v43, v3
	v_fmac_f32_e32 v41, v29, v59
	v_fmac_f32_e32 v78, v42, v61
	v_mul_f32_e32 v29, v69, v3
	s_waitcnt lgkmcnt(4)
	v_mul_f32_e32 v42, v72, v1
	v_mul_f32_e32 v3, v36, v1
	v_fma_f32 v21, v21, v59, -v58
	v_fma_f32 v80, v69, v2, -v62
	v_fmac_f32_e32 v29, v43, v2
	ds_read2_b32 v[1:2], v48 offset1:135
	s_waitcnt vmcnt(3)
	v_mul_f32_e32 v58, v73, v5
	v_fma_f32 v42, v36, v0, -v42
	v_fmac_f32_e32 v3, v72, v0
	v_mul_f32_e32 v5, v37, v5
	s_waitcnt lgkmcnt(4)
	v_mul_f32_e32 v0, v70, v7
	v_mul_f32_e32 v43, v34, v7
	v_fma_f32 v68, v68, v61, -v60
	s_waitcnt vmcnt(2)
	v_mul_f32_e32 v7, v71, v9
	v_fma_f32 v36, v37, v4, -v58
	v_mul_f32_e32 v69, v35, v9
	s_waitcnt lgkmcnt(3)
	v_mul_f32_e32 v9, v74, v11
	v_fmac_f32_e32 v5, v73, v4
	v_mul_f32_e32 v37, v32, v11
	s_waitcnt vmcnt(1)
	v_mul_f32_e32 v11, v75, v15
	v_fma_f32 v60, v34, v6, -v0
	v_fmac_f32_e32 v43, v70, v6
	v_mul_f32_e32 v4, v33, v15
	s_waitcnt lgkmcnt(2)
	v_mul_f32_e32 v6, v76, v13
	v_mul_f32_e32 v61, v30, v13
	s_waitcnt vmcnt(0)
	v_mul_f32_e32 v13, v77, v65
	v_fma_f32 v70, v35, v8, -v7
	v_mul_f32_e32 v58, v31, v65
	s_waitcnt lgkmcnt(1)
	v_mul_f32_e32 v7, v79, v67
	v_fmac_f32_e32 v69, v71, v8
	v_mul_f32_e32 v0, v63, v67
	v_fma_f32 v59, v32, v10, -v9
	v_fmac_f32_e32 v37, v74, v10
	v_fma_f32 v34, v33, v14, -v11
	v_fmac_f32_e32 v4, v75, v14
	v_fma_f32 v74, v30, v12, -v6
	v_fmac_f32_e32 v61, v76, v12
	v_fma_f32 v62, v31, v64, -v13
	v_fmac_f32_e32 v58, v77, v64
	v_fma_f32 v8, v63, v66, -v7
	v_fmac_f32_e32 v0, v79, v66
	v_sub_f32_e32 v6, v21, v68
	v_sub_f32_e32 v7, v59, v70
	;; [unrolled: 1-line block ×6, first 2 shown]
	v_add_f32_e32 v30, v80, v74
	v_sub_f32_e32 v31, v42, v80
	v_sub_f32_e32 v32, v34, v74
	;; [unrolled: 1-line block ×6, first 2 shown]
	v_add_f32_e32 v71, v29, v61
	v_sub_f32_e32 v75, v29, v3
	v_sub_f32_e32 v76, v61, v4
	v_add_f32_e32 v72, v3, v4
	s_waitcnt lgkmcnt(0)
	v_add_f32_e32 v65, v2, v3
	v_add_f32_e32 v10, v6, v7
	;; [unrolled: 1-line block ×5, first 2 shown]
	v_fma_f32 v6, -0.5, v30, v23
	v_add_f32_e32 v15, v35, v63
	v_sub_f32_e32 v35, v5, v43
	v_add_f32_e32 v30, v64, v67
	v_sub_f32_e32 v63, v0, v58
	v_fma_f32 v7, -0.5, v71, v2
	v_add_f32_e32 v64, v43, v58
	v_add_f32_e32 v31, v75, v76
	;; [unrolled: 1-line block ×6, first 2 shown]
	v_fmac_f32_e32 v2, -0.5, v72
	v_add_f32_e32 v67, v28, v5
	v_sub_f32_e32 v72, v43, v5
	v_add_f32_e32 v63, v35, v63
	v_sub_f32_e32 v76, v58, v0
	v_fma_f32 v35, -0.5, v64, v28
	v_fmac_f32_e32 v28, -0.5, v71
	v_add_f32_e32 v71, v1, v41
	v_add_f32_e32 v75, v75, v68
	;; [unrolled: 1-line block ×3, first 2 shown]
	v_sub_f32_e32 v9, v68, v21
	v_sub_f32_e32 v11, v70, v59
	v_add_f32_e32 v33, v42, v34
	v_add_f32_e32 v64, v72, v76
	;; [unrolled: 1-line block ×6, first 2 shown]
	v_sub_f32_e32 v29, v29, v61
	v_add_f32_e32 v66, v66, v60
	v_add_f32_e32 v61, v65, v61
	v_add_f32_e32 v65, v21, v59
	v_sub_f32_e32 v77, v36, v60
	v_sub_f32_e32 v79, v8, v62
	v_add_f32_e32 v11, v9, v11
	v_add_f32_e32 v9, v60, v62
	v_sub_f32_e32 v82, v60, v36
	v_fmac_f32_e32 v23, -0.5, v33
	v_sub_f32_e32 v33, v62, v8
	v_add_f32_e32 v72, v68, v70
	v_sub_f32_e32 v68, v68, v70
	v_sub_f32_e32 v70, v78, v69
	;; [unrolled: 1-line block ×3, first 2 shown]
	v_add_f32_e32 v67, v67, v43
	v_sub_f32_e32 v21, v21, v59
	v_add_f32_e32 v62, v66, v62
	v_sub_f32_e32 v66, v41, v37
	v_add_f32_e32 v41, v41, v37
	v_fma_f32 v65, -0.5, v65, v22
	v_fma_f32 v73, -0.5, v73, v1
	v_sub_f32_e32 v43, v43, v58
	v_sub_f32_e32 v3, v3, v4
	v_fma_f32 v72, -0.5, v72, v22
	v_fma_f32 v78, -0.5, v41, v1
	v_add_f32_e32 v1, v67, v58
	v_add_f32_e32 v58, v71, v59
	v_fmamk_f32 v59, v70, 0xbf737871, v65
	v_fmac_f32_e32 v65, 0x3f737871, v70
	v_fmamk_f32 v67, v21, 0xbf737871, v73
	v_fmac_f32_e32 v73, 0x3f737871, v21
	v_add_f32_e32 v69, v76, v69
	v_add_nc_u32_e32 v76, 0xffffffa6, v44
	v_add_f32_e32 v32, v77, v79
	v_sub_f32_e32 v77, v80, v74
	v_add_f32_e32 v74, v75, v74
	v_mov_b32_e32 v75, 0x91a3
	v_fmamk_f32 v41, v66, 0x3f737871, v72
	v_fmac_f32_e32 v72, 0xbf737871, v66
	v_fmac_f32_e32 v59, 0x3f167918, v66
	;; [unrolled: 1-line block ×3, first 2 shown]
	v_fmamk_f32 v66, v68, 0x3f737871, v78
	v_fmac_f32_e32 v78, 0xbf737871, v68
	v_fmac_f32_e32 v67, 0xbf167918, v68
	;; [unrolled: 1-line block ×3, first 2 shown]
	v_fmamk_f32 v68, v3, 0x3f737871, v6
	v_fmac_f32_e32 v6, 0xbf737871, v3
	v_add_f32_e32 v81, v36, v8
	v_fma_f32 v9, -0.5, v9, v20
	v_add_f32_e32 v37, v69, v37
	v_fmamk_f32 v69, v29, 0xbf737871, v23
	v_fmac_f32_e32 v23, 0x3f737871, v29
	v_sub_f32_e32 v5, v5, v0
	v_cndmask_b32_e64 v76, v76, v54, s0
	v_fmac_f32_e32 v41, 0x3f167918, v70
	v_fmac_f32_e32 v72, 0xbf167918, v70
	v_sub_f32_e32 v42, v42, v34
	v_fmac_f32_e32 v68, 0x3f167918, v29
	v_fmac_f32_e32 v6, 0xbf167918, v29
	v_mul_u32_u24_sdwa v29, v52, v75 dst_sel:DWORD dst_unused:UNUSED_PAD src0_sel:WORD_0 src1_sel:DWORD
	v_mul_u32_u24_sdwa v70, v53, v75 dst_sel:DWORD dst_unused:UNUSED_PAD src0_sel:WORD_0 src1_sel:DWORD
	v_fmac_f32_e32 v20, -0.5, v81
	v_fmac_f32_e32 v69, 0x3f167918, v3
	v_fmac_f32_e32 v23, 0xbf167918, v3
	v_fmamk_f32 v3, v5, 0x3f737871, v9
	v_fmac_f32_e32 v9, 0xbf737871, v5
	v_mov_b32_e32 v22, v17
	v_fmac_f32_e32 v66, 0xbf167918, v21
	v_fmac_f32_e32 v78, 0x3f167918, v21
	v_lshlrev_b32_e32 v21, 1, v76
	v_sub_f32_e32 v36, v36, v8
	v_lshrrev_b32_e32 v71, 23, v29
	v_lshrrev_b32_e32 v29, 23, v70
	v_fmamk_f32 v70, v42, 0xbf737871, v7
	v_add_f32_e32 v34, v74, v34
	v_add_f32_e32 v74, v61, v4
	v_fmamk_f32 v75, v77, 0x3f737871, v2
	v_fmac_f32_e32 v2, 0xbf737871, v77
	v_fmamk_f32 v4, v43, 0xbf737871, v20
	v_fmac_f32_e32 v20, 0x3f737871, v43
	v_fmac_f32_e32 v3, 0x3f167918, v43
	;; [unrolled: 1-line block ×3, first 2 shown]
	v_fmamk_f32 v43, v60, 0x3f737871, v28
	v_fmac_f32_e32 v28, 0xbf737871, v60
	v_lshlrev_b64 v[21:22], 3, v[21:22]
	v_fmac_f32_e32 v7, 0x3f737871, v42
	v_add_f32_e32 v8, v62, v8
	v_fmamk_f32 v62, v36, 0xbf737871, v35
	v_fmac_f32_e32 v35, 0x3f737871, v36
	v_fmac_f32_e32 v70, 0xbf167918, v77
	v_add_f32_e32 v33, v82, v33
	v_fmac_f32_e32 v75, 0xbf167918, v42
	v_fmac_f32_e32 v2, 0x3f167918, v42
	;; [unrolled: 1-line block ×15, first 2 shown]
	v_add_co_u32 v13, s0, s12, v21
	v_fmac_f32_e32 v72, 0x3e9e377a, v10
	v_fmac_f32_e32 v73, 0x3e9e377a, v12
	;; [unrolled: 1-line block ×4, first 2 shown]
	v_lshlrev_b64 v[15:16], 3, v[16:17]
	v_fmac_f32_e32 v68, 0x3e9e377a, v14
	v_fmac_f32_e32 v6, 0x3e9e377a, v14
	;; [unrolled: 1-line block ×3, first 2 shown]
	v_add_co_ci_u32_e64 v14, s0, s13, v22, s0
	v_fmac_f32_e32 v75, 0x3e9e377a, v31
	v_fmac_f32_e32 v2, 0x3e9e377a, v31
	;; [unrolled: 1-line block ×5, first 2 shown]
	s_barrier
	buffer_gl0_inv
	v_add_f32_e32 v77, v1, v0
	v_fmac_f32_e32 v7, 0x3e9e377a, v30
	v_fmac_f32_e32 v9, 0x3e9e377a, v32
	;; [unrolled: 1-line block ×6, first 2 shown]
	ds_write2_b32 v40, v58, v41 offset1:45
	ds_write2_b32 v40, v59, v65 offset0:90 offset1:135
	ds_write_b32 v40, v72 offset:720
	ds_write2_b32 v39, v34, v68 offset1:45
	ds_write2_b32 v39, v69, v23 offset0:90 offset1:135
	ds_write_b32 v39, v6 offset:720
	;; [unrolled: 3-line block ×3, first 2 shown]
	s_waitcnt lgkmcnt(0)
	s_barrier
	buffer_gl0_inv
	ds_read2_b32 v[5:6], v48 offset1:135
	ds_read2_b32 v[0:1], v49 offset0:28 offset1:163
	ds_read2_b32 v[11:12], v50 offset0:70 offset1:205
	;; [unrolled: 1-line block ×6, first 2 shown]
	ds_read_b32 v72, v48 offset:7560
	s_waitcnt lgkmcnt(0)
	s_barrier
	buffer_gl0_inv
	ds_write2_b32 v40, v37, v67 offset1:45
	ds_write2_b32 v40, v66, v78 offset0:90 offset1:135
	ds_write_b32 v40, v73 offset:720
	ds_write2_b32 v39, v74, v70 offset1:45
	ds_write2_b32 v39, v75, v2 offset0:90 offset1:135
	ds_write_b32 v39, v7 offset:720
	;; [unrolled: 3-line block ×3, first 2 shown]
	v_mul_lo_u16 v28, 0xe1, v29
	s_waitcnt lgkmcnt(0)
	s_barrier
	buffer_gl0_inv
	s_clause 0x1
	global_load_dwordx4 v[7:10], v[18:19], off offset:1776
	global_load_dwordx4 v[20:23], v[13:14], off offset:1776
	v_add_co_u32 v13, s0, s12, v15
	v_mul_lo_u16 v2, 0xe1, v71
	v_add_co_ci_u32_e64 v14, s0, s13, v16, s0
	v_sub_nc_u16 v15, v53, v28
	v_cmp_lt_u32_e64 s0, 0x59, v44
	v_sub_nc_u16 v2, v52, v2
	global_load_dwordx4 v[28:31], v[13:14], off offset:1776
	v_lshlrev_b32_e32 v43, 2, v76
	v_and_b32_e32 v13, 0xffff, v15
	v_cndmask_b32_e64 v16, 0, 0xa8c, s0
	v_lshlrev_b32_sdwa v14, v56, v2 dst_sel:DWORD dst_unused:UNUSED_PAD src0_sel:DWORD src1_sel:WORD_0
	v_mul_u32_u24_e32 v56, 0xa8c, v71
	v_lshlrev_b32_sdwa v2, v57, v2 dst_sel:DWORD dst_unused:UNUSED_PAD src0_sel:DWORD src1_sel:WORD_0
	v_lshlrev_b32_e32 v15, 4, v13
	s_clause 0x1
	global_load_dwordx4 v[32:35], v14, s[12:13] offset:1776
	global_load_dwordx4 v[36:39], v15, s[12:13] offset:1776
	ds_read2_b32 v[14:15], v49 offset0:28 offset1:163
	ds_read2_b32 v[62:63], v50 offset0:70 offset1:205
	v_add3_u32 v16, 0, v16, v43
	v_add3_u32 v43, 0, v56, v2
	ds_read2_b32 v[56:57], v45 offset0:42 offset1:177
	ds_read2_b32 v[64:65], v47 offset0:84 offset1:219
	;; [unrolled: 1-line block ×3, first 2 shown]
	ds_read_b32 v2, v48 offset:7560
	ds_read2_b32 v[68:69], v48 offset1:135
	ds_read2_b32 v[70:71], v46 offset0:14 offset1:149
	v_lshl_add_u32 v73, v13, 2, 0
	v_lshl_add_u32 v40, v44, 2, 0
	s_waitcnt vmcnt(0) lgkmcnt(0)
	s_barrier
	buffer_gl0_inv
	v_add_nc_u32_e32 v75, 0x1500, v73
	v_add_nc_u32_e32 v74, 0xb00, v40
	v_mul_f32_e32 v13, v15, v8
	v_mul_f32_e32 v8, v1, v8
	;; [unrolled: 1-line block ×4, first 2 shown]
	v_fma_f32 v1, v1, v7, -v13
	v_fmac_f32_e32 v8, v15, v7
	v_fma_f32 v7, v11, v9, -v76
	v_fmac_f32_e32 v10, v62, v9
	v_mul_f32_e32 v9, v63, v23
	v_mul_f32_e32 v11, v12, v23
	;; [unrolled: 1-line block ×5, first 2 shown]
	v_fma_f32 v9, v12, v22, -v9
	v_mul_f32_e32 v12, v57, v29
	v_fmac_f32_e32 v11, v63, v22
	v_mul_f32_e32 v22, v64, v31
	v_mul_f32_e32 v23, v58, v31
	v_fma_f32 v13, v41, v20, -v13
	v_fmac_f32_e32 v15, v56, v20
	v_mul_f32_e32 v20, v65, v35
	v_mul_f32_e32 v29, v59, v35
	;; [unrolled: 1-line block ×3, first 2 shown]
	v_fma_f32 v12, v42, v28, -v12
	v_mul_f32_e32 v35, v67, v37
	v_fmac_f32_e32 v21, v57, v28
	v_mul_f32_e32 v28, v2, v39
	v_mul_f32_e32 v33, v60, v33
	;; [unrolled: 1-line block ×4, first 2 shown]
	v_fma_f32 v22, v58, v30, -v22
	v_fmac_f32_e32 v23, v64, v30
	v_fma_f32 v20, v59, v34, -v20
	v_fma_f32 v30, v60, v32, -v31
	;; [unrolled: 1-line block ×4, first 2 shown]
	v_fmac_f32_e32 v33, v66, v32
	v_add_f32_e32 v32, v1, v7
	v_fmac_f32_e32 v29, v65, v34
	v_fmac_f32_e32 v37, v67, v36
	;; [unrolled: 1-line block ×3, first 2 shown]
	v_add_f32_e32 v2, v5, v1
	v_sub_f32_e32 v34, v8, v10
	v_add_f32_e32 v35, v68, v8
	v_add_f32_e32 v8, v8, v10
	;; [unrolled: 1-line block ×6, first 2 shown]
	v_sub_f32_e32 v41, v15, v11
	v_add_f32_e32 v42, v69, v15
	v_add_f32_e32 v15, v15, v11
	;; [unrolled: 1-line block ×3, first 2 shown]
	v_sub_f32_e32 v58, v21, v23
	v_add_f32_e32 v21, v21, v23
	v_add_f32_e32 v61, v30, v20
	;; [unrolled: 1-line block ×3, first 2 shown]
	v_fma_f32 v5, -0.5, v32, v5
	v_sub_f32_e32 v1, v1, v7
	v_sub_f32_e32 v13, v13, v9
	;; [unrolled: 1-line block ×3, first 2 shown]
	v_add_f32_e32 v64, v0, v31
	v_add_f32_e32 v2, v2, v7
	;; [unrolled: 1-line block ×3, first 2 shown]
	v_fmac_f32_e32 v6, -0.5, v38
	v_add_f32_e32 v9, v56, v22
	v_add_f32_e32 v22, v59, v23
	v_fma_f32 v23, -0.5, v8, v68
	v_add_f32_e32 v60, v4, v30
	v_add_f32_e32 v62, v71, v33
	;; [unrolled: 1-line block ×3, first 2 shown]
	v_sub_f32_e32 v33, v33, v29
	v_sub_f32_e32 v66, v37, v39
	v_fmac_f32_e32 v69, -0.5, v15
	v_fmac_f32_e32 v4, -0.5, v61
	;; [unrolled: 1-line block ×3, first 2 shown]
	v_fma_f32 v3, -0.5, v57, v3
	v_fma_f32 v21, -0.5, v21, v70
	v_fmamk_f32 v8, v34, 0x3f5db3d7, v5
	v_fmac_f32_e32 v5, 0xbf5db3d7, v34
	v_sub_f32_e32 v31, v31, v28
	v_add_f32_e32 v36, v42, v11
	v_add_f32_e32 v11, v64, v28
	v_fmamk_f32 v28, v1, 0xbf5db3d7, v23
	v_fmac_f32_e32 v23, 0x3f5db3d7, v1
	v_fmamk_f32 v1, v41, 0x3f5db3d7, v6
	v_fmac_f32_e32 v6, 0xbf5db3d7, v41
	v_sub_f32_e32 v30, v30, v20
	v_add_f32_e32 v35, v35, v10
	v_add_f32_e32 v10, v60, v20
	;; [unrolled: 1-line block ×3, first 2 shown]
	v_fmamk_f32 v29, v13, 0xbf5db3d7, v69
	v_fmac_f32_e32 v69, 0x3f5db3d7, v13
	v_fmamk_f32 v13, v58, 0x3f5db3d7, v3
	v_fmac_f32_e32 v3, 0xbf5db3d7, v58
	;; [unrolled: 2-line block ×5, first 2 shown]
	ds_write2_b32 v48, v2, v8 offset1:225
	ds_write_b32 v48, v5 offset:1800
	ds_write2_b32 v16, v7, v1 offset1:225
	ds_write_b32 v16, v6 offset:1800
	ds_write2_b32 v74, v9, v13 offset0:16 offset1:241
	ds_write_b32 v40, v3 offset:4680
	ds_write2_b32 v43, v10, v12 offset1:225
	ds_write_b32 v43, v4 offset:1800
	ds_write2_b32 v75, v11, v15 offset0:6 offset1:231
	ds_write_b32 v73, v0 offset:7200
	s_waitcnt lgkmcnt(0)
	s_barrier
	buffer_gl0_inv
	ds_read2_b32 v[0:1], v48 offset1:135
	ds_read2_b32 v[10:11], v49 offset0:28 offset1:163
	ds_read2_b32 v[4:5], v50 offset0:70 offset1:205
	;; [unrolled: 1-line block ×6, first 2 shown]
	ds_read_b32 v15, v48 offset:7560
	v_add_f32_e32 v67, v14, v37
	v_add_f32_e32 v37, v37, v39
	v_fmac_f32_e32 v71, -0.5, v63
	s_waitcnt lgkmcnt(0)
	s_barrier
	buffer_gl0_inv
	v_fmac_f32_e32 v14, -0.5, v37
	v_fmamk_f32 v33, v30, 0xbf5db3d7, v71
	v_fmac_f32_e32 v71, 0x3f5db3d7, v30
	v_add_f32_e32 v30, v67, v39
	v_fmamk_f32 v34, v31, 0xbf5db3d7, v14
	v_fmac_f32_e32 v14, 0x3f5db3d7, v31
	ds_write2_b32 v48, v35, v28 offset1:225
	ds_write_b32 v48, v23 offset:1800
	ds_write2_b32 v16, v36, v29 offset1:225
	ds_write_b32 v16, v69 offset:1800
	ds_write2_b32 v74, v22, v32 offset0:16 offset1:241
	ds_write_b32 v40, v21 offset:4680
	ds_write2_b32 v43, v20, v33 offset1:225
	ds_write_b32 v43, v71 offset:1800
	ds_write2_b32 v75, v30, v34 offset0:6 offset1:231
	ds_write_b32 v73, v14 offset:7200
	s_waitcnt lgkmcnt(0)
	s_barrier
	buffer_gl0_inv
	s_and_saveexec_b32 s0, vcc_lo
	s_cbranch_execz .LBB0_15
; %bb.14:
	v_lshlrev_b32_e32 v16, 1, v53
	v_add_co_u32 v18, vcc_lo, 0x1000, v18
	v_add_co_ci_u32_e32 v19, vcc_lo, 0, v19, vcc_lo
	v_lshlrev_b64 v[20:21], 3, v[16:17]
	v_add_nc_u32_e32 v59, 0x10e, v44
	v_add_nc_u32_e32 v60, 0x195, v44
	;; [unrolled: 1-line block ×3, first 2 shown]
	v_lshlrev_b64 v[24:25], 3, v[24:25]
	v_mov_b32_e32 v56, v17
	v_add_co_u32 v14, vcc_lo, s12, v20
	v_add_co_ci_u32_e32 v16, vcc_lo, s13, v21, vcc_lo
	global_load_dwordx4 v[18:21], v[18:19], off offset:1280
	v_add_co_u32 v22, vcc_lo, 0x1000, v14
	v_add_co_ci_u32_e32 v23, vcc_lo, 0, v16, vcc_lo
	v_lshlrev_b32_e32 v16, 1, v52
	v_mul_hi_u32 v62, 0xc22e4507, v59
	v_mul_hi_u32 v63, 0xc22e4507, v60
	global_load_dwordx4 v[28:31], v[22:23], off offset:1280
	v_mul_hi_u32 v64, 0xc22e4507, v61
	v_lshlrev_b64 v[22:23], 3, v[16:17]
	v_lshlrev_b32_e32 v16, 1, v55
	v_mul_hi_u32 v55, 0xc22e4507, v44
	v_mov_b32_e32 v57, v17
	v_lshrrev_b32_e32 v62, 9, v62
	v_lshrrev_b32_e32 v66, 9, v63
	v_add_co_u32 v14, vcc_lo, s12, v22
	v_add_co_ci_u32_e32 v23, vcc_lo, s13, v23, vcc_lo
	v_lshlrev_b64 v[36:37], 3, v[16:17]
	v_add_co_u32 v22, vcc_lo, 0x1000, v14
	v_add_co_ci_u32_e32 v23, vcc_lo, 0, v23, vcc_lo
	v_lshlrev_b32_e32 v16, 1, v54
	v_add_co_u32 v14, vcc_lo, s12, v36
	global_load_dwordx4 v[32:35], v[22:23], off offset:1280
	v_add_co_ci_u32_e32 v23, vcc_lo, s13, v37, vcc_lo
	v_lshlrev_b64 v[40:41], 3, v[16:17]
	v_add_co_u32 v22, vcc_lo, 0x1000, v14
	v_add_co_ci_u32_e32 v23, vcc_lo, 0, v23, vcc_lo
	v_lshrrev_b32_e32 v55, 9, v55
	v_add_co_u32 v14, vcc_lo, s12, v40
	v_add_co_ci_u32_e32 v16, vcc_lo, s13, v41, vcc_lo
	global_load_dwordx4 v[36:39], v[22:23], off offset:1280
	v_add_co_u32 v22, vcc_lo, 0x1000, v14
	v_add_co_ci_u32_e32 v23, vcc_lo, 0, v16, vcc_lo
	v_mul_lo_u32 v14, s3, v26
	v_mul_lo_u32 v16, s2, v27
	v_lshrrev_b32_e32 v70, 9, v64
	global_load_dwordx4 v[40:43], v[22:23], off offset:1280
	v_mad_u64_u32 v[22:23], null, s2, v26, 0
	ds_read2_b32 v[26:27], v51 offset0:56 offset1:191
	ds_read_b32 v69, v48 offset:7560
	ds_read2_b32 v[51:52], v49 offset0:28 offset1:163
	ds_read2_b32 v[49:50], v50 offset0:70 offset1:205
	ds_read2_b32 v[53:54], v48 offset1:135
	v_add_nc_u32_e32 v48, 0x87, v44
	v_mul_u32_u24_e32 v63, 0x2a3, v66
	v_mul_u32_u24_e32 v64, 0x2a3, v70
	v_mul_hi_u32 v58, 0xc22e4507, v48
	v_add3_u32 v23, v23, v16, v14
	v_mul_u32_u24_e32 v16, 0x2a3, v55
	v_sub_nc_u32_e32 v68, v60, v63
	v_sub_nc_u32_e32 v71, v61, v64
	v_mov_b32_e32 v14, v17
	v_lshlrev_b64 v[22:23], 3, v[22:23]
	v_sub_nc_u32_e32 v44, v44, v16
	v_lshrrev_b32_e32 v65, 9, v58
	v_mov_b32_e32 v58, v17
	v_mul_u32_u24_e32 v55, 0x2a3, v65
	v_sub_nc_u32_e32 v48, v48, v55
	v_mul_u32_u24_e32 v55, 0x2a3, v62
	v_mad_u32_u24 v16, 0x7e9, v65, v48
	v_add_co_u32 v48, vcc_lo, s10, v22
	v_add_co_ci_u32_e32 v65, vcc_lo, s11, v23, vcc_lo
	v_sub_nc_u32_e32 v67, v59, v55
	v_lshlrev_b64 v[22:23], 3, v[16:17]
	v_add_nc_u32_e32 v55, 0x2a3, v16
	v_add_nc_u32_e32 v16, 0x546, v16
	v_add_co_u32 v72, vcc_lo, v48, v24
	v_add_co_ci_u32_e32 v73, vcc_lo, v65, v25, vcc_lo
	v_lshlrev_b64 v[59:60], 3, v[16:17]
	v_mad_u32_u24 v16, 0x7e9, v62, v67
	v_lshlrev_b64 v[24:25], 3, v[55:56]
	v_add_co_u32 v22, vcc_lo, v72, v22
	v_add_co_ci_u32_e32 v23, vcc_lo, v73, v23, vcc_lo
	v_lshlrev_b64 v[61:62], 3, v[16:17]
	v_add_nc_u32_e32 v56, 0x2a3, v16
	v_add_nc_u32_e32 v16, 0x546, v16
	v_add_co_u32 v24, vcc_lo, v72, v24
	v_add_co_ci_u32_e32 v25, vcc_lo, v73, v25, vcc_lo
	v_lshlrev_b64 v[63:64], 3, v[16:17]
	v_mad_u32_u24 v16, 0x7e9, v66, v68
	v_add_co_u32 v59, vcc_lo, v72, v59
	v_lshlrev_b64 v[55:56], 3, v[56:57]
	v_add_co_ci_u32_e32 v60, vcc_lo, v73, v60, vcc_lo
	v_lshlrev_b64 v[65:66], 3, v[16:17]
	v_add_nc_u32_e32 v57, 0x2a3, v16
	v_add_nc_u32_e32 v16, 0x546, v16
	v_add_co_u32 v61, vcc_lo, v72, v61
	v_add_co_ci_u32_e32 v62, vcc_lo, v73, v62, vcc_lo
	v_lshlrev_b64 v[67:68], 3, v[16:17]
	v_mad_u32_u24 v16, 0x7e9, v70, v71
	v_add_co_u32 v55, vcc_lo, v72, v55
	v_add_co_ci_u32_e32 v56, vcc_lo, v73, v56, vcc_lo
	v_add_co_u32 v63, vcc_lo, v72, v63
	v_add_co_ci_u32_e32 v64, vcc_lo, v73, v64, vcc_lo
	s_waitcnt vmcnt(4) lgkmcnt(1)
	v_mul_f32_e32 v70, v49, v21
	v_mul_f32_e32 v74, v4, v21
	;; [unrolled: 1-line block ×4, first 2 shown]
	v_lshlrev_b32_e32 v21, 3, v44
	v_fma_f32 v4, v4, v20, -v70
	v_fmac_f32_e32 v74, v20, v49
	v_fma_f32 v11, v11, v18, -v48
	s_waitcnt vmcnt(3)
	v_mul_f32_e32 v20, v69, v31
	v_fmac_f32_e32 v71, v18, v52
	v_add_co_u32 v18, vcc_lo, v72, v65
	v_lshlrev_b64 v[48:49], 3, v[57:58]
	v_add_co_ci_u32_e32 v19, vcc_lo, v73, v66, vcc_lo
	v_mul_f32_e32 v31, v15, v31
	v_fma_f32 v75, v15, v30, -v20
	v_add_co_u32 v20, vcc_lo, v72, v21
	v_add_co_ci_u32_e32 v21, vcc_lo, 0, v73, vcc_lo
	v_mul_f32_e32 v44, v27, v29
	v_mul_f32_e32 v70, v13, v29
	v_add_co_u32 v29, vcc_lo, v72, v48
	v_fmac_f32_e32 v31, v30, v69
	v_add_co_ci_u32_e32 v30, vcc_lo, v73, v49, vcc_lo
	v_add_co_u32 v48, vcc_lo, v72, v67
	s_waitcnt lgkmcnt(0)
	v_add_f32_e32 v65, v71, v53
	v_add_f32_e32 v67, v0, v11
	v_fma_f32 v76, v13, v28, -v44
	v_add_nc_u32_e32 v13, 0x2a3, v16
	v_fmac_f32_e32 v70, v28, v27
	v_lshlrev_b64 v[27:28], 3, v[16:17]
	ds_read2_b32 v[57:58], v47 offset0:84 offset1:219
	v_add_f32_e32 v66, v74, v65
	v_add_f32_e32 v65, v67, v4
	v_add_nc_u32_e32 v16, 0x546, v16
	v_add_f32_e32 v44, v11, v4
	v_lshlrev_b64 v[13:14], 3, v[13:14]
	v_add_co_ci_u32_e32 v49, vcc_lo, v73, v68, vcc_lo
	global_store_dwordx2 v[20:21], v[65:66], off
	v_lshlrev_b64 v[15:16], 3, v[16:17]
	v_add_co_u32 v27, vcc_lo, v72, v27
	v_fma_f32 v52, -0.5, v44, v0
	ds_read2_b32 v[44:45], v45 offset0:42 offset1:177
	ds_read2_b32 v[46:47], v46 offset0:14 offset1:149
	v_add_co_ci_u32_e32 v28, vcc_lo, v73, v28, vcc_lo
	v_add_co_u32 v13, vcc_lo, v72, v13
	v_add_f32_e32 v17, v71, v74
	v_add_co_ci_u32_e32 v14, vcc_lo, v73, v14, vcc_lo
	v_add_co_u32 v15, vcc_lo, v72, v15
	v_add_co_ci_u32_e32 v16, vcc_lo, v73, v16, vcc_lo
	v_fma_f32 v53, -0.5, v17, v53
	v_sub_f32_e32 v0, v11, v4
	v_sub_f32_e32 v11, v71, v74
	v_add_co_u32 v67, vcc_lo, 0x1000, v20
	v_add_co_ci_u32_e32 v68, vcc_lo, 0, v21, vcc_lo
	v_add_co_u32 v20, vcc_lo, 0x2800, v20
	v_add_co_ci_u32_e32 v21, vcc_lo, 0, v21, vcc_lo
	v_fmamk_f32 v66, v0, 0x3f5db3d7, v53
	v_fmac_f32_e32 v53, 0xbf5db3d7, v0
	v_fmamk_f32 v65, v11, 0xbf5db3d7, v52
	s_waitcnt vmcnt(2)
	v_mul_f32_e32 v0, v26, v33
	s_waitcnt lgkmcnt(2)
	v_mul_f32_e32 v4, v58, v35
	v_mul_f32_e32 v17, v12, v33
	;; [unrolled: 1-line block ×3, first 2 shown]
	v_fmac_f32_e32 v52, 0x3f5db3d7, v11
	global_store_dwordx2 v[20:21], v[65:66], off offset:560
	v_add_f32_e32 v11, v70, v31
	v_add_f32_e32 v20, v70, v51
	v_fma_f32 v0, v12, v32, -v0
	v_fma_f32 v9, v9, v34, -v4
	v_fmac_f32_e32 v17, v32, v26
	v_fmac_f32_e32 v33, v34, v58
	s_waitcnt vmcnt(1) lgkmcnt(1)
	v_mul_f32_e32 v4, v45, v37
	v_mul_f32_e32 v12, v57, v39
	;; [unrolled: 1-line block ×4, first 2 shown]
	global_store_dwordx2 v[67:68], v[52:53], off offset:1304
	v_sub_f32_e32 v35, v76, v75
	v_sub_f32_e32 v53, v70, v31
	v_fma_f32 v11, -0.5, v11, v51
	v_add_f32_e32 v21, v31, v20
	v_add_f32_e32 v31, v17, v33
	s_waitcnt lgkmcnt(0)
	v_add_f32_e32 v32, v17, v47
	v_add_f32_e32 v39, v0, v9
	v_fma_f32 v51, v7, v36, -v4
	v_fma_f32 v12, v8, v38, -v12
	v_fmac_f32_e32 v26, v36, v45
	v_fmac_f32_e32 v37, v38, v57
	s_waitcnt vmcnt(0)
	v_mul_f32_e32 v36, v44, v41
	v_mul_f32_e32 v38, v50, v43
	;; [unrolled: 1-line block ×4, first 2 shown]
	v_sub_f32_e32 v34, v0, v9
	v_sub_f32_e32 v17, v17, v33
	v_add_f32_e32 v0, v3, v0
	v_fmamk_f32 v8, v35, 0x3f5db3d7, v11
	v_fmac_f32_e32 v11, 0xbf5db3d7, v35
	v_fma_f32 v4, -0.5, v31, v47
	v_add_f32_e32 v32, v33, v32
	v_fma_f32 v3, -0.5, v39, v3
	v_add_f32_e32 v33, v26, v46
	v_add_f32_e32 v35, v51, v12
	v_fma_f32 v45, v6, v40, -v36
	v_fma_f32 v47, v5, v42, -v38
	v_fmac_f32_e32 v41, v40, v44
	v_fmac_f32_e32 v43, v42, v50
	v_add_f32_e32 v39, v2, v51
	v_add_f32_e32 v31, v0, v9
	;; [unrolled: 1-line block ×3, first 2 shown]
	v_fmamk_f32 v5, v17, 0xbf5db3d7, v3
	v_fmac_f32_e32 v3, 0x3f5db3d7, v17
	v_add_f32_e32 v36, v37, v33
	v_fma_f32 v33, -0.5, v35, v2
	v_add_f32_e32 v2, v41, v43
	v_add_f32_e32 v17, v45, v47
	;; [unrolled: 1-line block ×3, first 2 shown]
	v_sub_f32_e32 v0, v51, v12
	v_add_f32_e32 v35, v39, v12
	v_add_f32_e32 v12, v41, v54
	;; [unrolled: 1-line block ×3, first 2 shown]
	v_sub_f32_e32 v26, v26, v37
	v_fmamk_f32 v6, v34, 0x3f5db3d7, v4
	v_fmac_f32_e32 v4, 0xbf5db3d7, v34
	v_fma_f32 v34, -0.5, v9, v46
	v_sub_f32_e32 v9, v45, v47
	v_sub_f32_e32 v37, v41, v43
	v_fma_f32 v2, -0.5, v2, v54
	v_fma_f32 v1, -0.5, v17, v1
	v_add_f32_e32 v65, v10, v76
	v_fma_f32 v10, -0.5, v52, v10
	v_add_f32_e32 v40, v43, v12
	v_add_f32_e32 v39, v39, v47
	v_fmamk_f32 v42, v9, 0x3f5db3d7, v2
	v_fmac_f32_e32 v2, 0xbf5db3d7, v9
	v_fmamk_f32 v41, v37, 0xbf5db3d7, v1
	v_fmac_f32_e32 v1, 0x3f5db3d7, v37
	;; [unrolled: 2-line block ×4, first 2 shown]
	v_add_f32_e32 v20, v65, v75
	v_fmamk_f32 v7, v53, 0xbf5db3d7, v10
	v_fmac_f32_e32 v10, 0x3f5db3d7, v53
	global_store_dwordx2 v[22:23], v[39:40], off
	global_store_dwordx2 v[24:25], v[1:2], off
	;; [unrolled: 1-line block ×12, first 2 shown]
.LBB0_15:
	s_endpgm
	.section	.rodata,"a",@progbits
	.p2align	6, 0x0
	.amdhsa_kernel fft_rtc_fwd_len2025_factors_3_3_5_5_3_3_wgs_135_tpt_135_halfLds_sp_op_CI_CI_unitstride_sbrr_dirReg
		.amdhsa_group_segment_fixed_size 0
		.amdhsa_private_segment_fixed_size 0
		.amdhsa_kernarg_size 104
		.amdhsa_user_sgpr_count 6
		.amdhsa_user_sgpr_private_segment_buffer 1
		.amdhsa_user_sgpr_dispatch_ptr 0
		.amdhsa_user_sgpr_queue_ptr 0
		.amdhsa_user_sgpr_kernarg_segment_ptr 1
		.amdhsa_user_sgpr_dispatch_id 0
		.amdhsa_user_sgpr_flat_scratch_init 0
		.amdhsa_user_sgpr_private_segment_size 0
		.amdhsa_wavefront_size32 1
		.amdhsa_uses_dynamic_stack 0
		.amdhsa_system_sgpr_private_segment_wavefront_offset 0
		.amdhsa_system_sgpr_workgroup_id_x 1
		.amdhsa_system_sgpr_workgroup_id_y 0
		.amdhsa_system_sgpr_workgroup_id_z 0
		.amdhsa_system_sgpr_workgroup_info 0
		.amdhsa_system_vgpr_workitem_id 0
		.amdhsa_next_free_vgpr 83
		.amdhsa_next_free_sgpr 27
		.amdhsa_reserve_vcc 1
		.amdhsa_reserve_flat_scratch 0
		.amdhsa_float_round_mode_32 0
		.amdhsa_float_round_mode_16_64 0
		.amdhsa_float_denorm_mode_32 3
		.amdhsa_float_denorm_mode_16_64 3
		.amdhsa_dx10_clamp 1
		.amdhsa_ieee_mode 1
		.amdhsa_fp16_overflow 0
		.amdhsa_workgroup_processor_mode 1
		.amdhsa_memory_ordered 1
		.amdhsa_forward_progress 0
		.amdhsa_shared_vgpr_count 0
		.amdhsa_exception_fp_ieee_invalid_op 0
		.amdhsa_exception_fp_denorm_src 0
		.amdhsa_exception_fp_ieee_div_zero 0
		.amdhsa_exception_fp_ieee_overflow 0
		.amdhsa_exception_fp_ieee_underflow 0
		.amdhsa_exception_fp_ieee_inexact 0
		.amdhsa_exception_int_div_zero 0
	.end_amdhsa_kernel
	.text
.Lfunc_end0:
	.size	fft_rtc_fwd_len2025_factors_3_3_5_5_3_3_wgs_135_tpt_135_halfLds_sp_op_CI_CI_unitstride_sbrr_dirReg, .Lfunc_end0-fft_rtc_fwd_len2025_factors_3_3_5_5_3_3_wgs_135_tpt_135_halfLds_sp_op_CI_CI_unitstride_sbrr_dirReg
                                        ; -- End function
	.section	.AMDGPU.csdata,"",@progbits
; Kernel info:
; codeLenInByte = 10480
; NumSgprs: 29
; NumVgprs: 83
; ScratchSize: 0
; MemoryBound: 0
; FloatMode: 240
; IeeeMode: 1
; LDSByteSize: 0 bytes/workgroup (compile time only)
; SGPRBlocks: 3
; VGPRBlocks: 10
; NumSGPRsForWavesPerEU: 29
; NumVGPRsForWavesPerEU: 83
; Occupancy: 10
; WaveLimiterHint : 1
; COMPUTE_PGM_RSRC2:SCRATCH_EN: 0
; COMPUTE_PGM_RSRC2:USER_SGPR: 6
; COMPUTE_PGM_RSRC2:TRAP_HANDLER: 0
; COMPUTE_PGM_RSRC2:TGID_X_EN: 1
; COMPUTE_PGM_RSRC2:TGID_Y_EN: 0
; COMPUTE_PGM_RSRC2:TGID_Z_EN: 0
; COMPUTE_PGM_RSRC2:TIDIG_COMP_CNT: 0
	.text
	.p2alignl 6, 3214868480
	.fill 48, 4, 3214868480
	.type	__hip_cuid_f749d1d9c4873799,@object ; @__hip_cuid_f749d1d9c4873799
	.section	.bss,"aw",@nobits
	.globl	__hip_cuid_f749d1d9c4873799
__hip_cuid_f749d1d9c4873799:
	.byte	0                               ; 0x0
	.size	__hip_cuid_f749d1d9c4873799, 1

	.ident	"AMD clang version 19.0.0git (https://github.com/RadeonOpenCompute/llvm-project roc-6.4.0 25133 c7fe45cf4b819c5991fe208aaa96edf142730f1d)"
	.section	".note.GNU-stack","",@progbits
	.addrsig
	.addrsig_sym __hip_cuid_f749d1d9c4873799
	.amdgpu_metadata
---
amdhsa.kernels:
  - .args:
      - .actual_access:  read_only
        .address_space:  global
        .offset:         0
        .size:           8
        .value_kind:     global_buffer
      - .offset:         8
        .size:           8
        .value_kind:     by_value
      - .actual_access:  read_only
        .address_space:  global
        .offset:         16
        .size:           8
        .value_kind:     global_buffer
      - .actual_access:  read_only
        .address_space:  global
        .offset:         24
        .size:           8
        .value_kind:     global_buffer
      - .actual_access:  read_only
        .address_space:  global
        .offset:         32
        .size:           8
        .value_kind:     global_buffer
      - .offset:         40
        .size:           8
        .value_kind:     by_value
      - .actual_access:  read_only
        .address_space:  global
        .offset:         48
        .size:           8
        .value_kind:     global_buffer
      - .actual_access:  read_only
        .address_space:  global
        .offset:         56
        .size:           8
        .value_kind:     global_buffer
      - .offset:         64
        .size:           4
        .value_kind:     by_value
      - .actual_access:  read_only
        .address_space:  global
        .offset:         72
        .size:           8
        .value_kind:     global_buffer
      - .actual_access:  read_only
        .address_space:  global
        .offset:         80
        .size:           8
        .value_kind:     global_buffer
      - .actual_access:  read_only
        .address_space:  global
        .offset:         88
        .size:           8
        .value_kind:     global_buffer
      - .actual_access:  write_only
        .address_space:  global
        .offset:         96
        .size:           8
        .value_kind:     global_buffer
    .group_segment_fixed_size: 0
    .kernarg_segment_align: 8
    .kernarg_segment_size: 104
    .language:       OpenCL C
    .language_version:
      - 2
      - 0
    .max_flat_workgroup_size: 135
    .name:           fft_rtc_fwd_len2025_factors_3_3_5_5_3_3_wgs_135_tpt_135_halfLds_sp_op_CI_CI_unitstride_sbrr_dirReg
    .private_segment_fixed_size: 0
    .sgpr_count:     29
    .sgpr_spill_count: 0
    .symbol:         fft_rtc_fwd_len2025_factors_3_3_5_5_3_3_wgs_135_tpt_135_halfLds_sp_op_CI_CI_unitstride_sbrr_dirReg.kd
    .uniform_work_group_size: 1
    .uses_dynamic_stack: false
    .vgpr_count:     83
    .vgpr_spill_count: 0
    .wavefront_size: 32
    .workgroup_processor_mode: 1
amdhsa.target:   amdgcn-amd-amdhsa--gfx1030
amdhsa.version:
  - 1
  - 2
...

	.end_amdgpu_metadata
